;; amdgpu-corpus repo=ROCm/rocFFT kind=compiled arch=gfx1030 opt=O3
	.text
	.amdgcn_target "amdgcn-amd-amdhsa--gfx1030"
	.amdhsa_code_object_version 6
	.protected	bluestein_single_back_len1331_dim1_dp_op_CI_CI ; -- Begin function bluestein_single_back_len1331_dim1_dp_op_CI_CI
	.globl	bluestein_single_back_len1331_dim1_dp_op_CI_CI
	.p2align	8
	.type	bluestein_single_back_len1331_dim1_dp_op_CI_CI,@function
bluestein_single_back_len1331_dim1_dp_op_CI_CI: ; @bluestein_single_back_len1331_dim1_dp_op_CI_CI
; %bb.0:
	s_load_dwordx4 s[12:15], s[4:5], 0x28
	v_mul_u32_u24_e32 v1, 0x21e, v0
	v_mov_b32_e32 v2, 0
	s_mov_b32 s0, exec_lo
	v_lshrrev_b32_e32 v3, 16, v1
	v_lshl_add_u32 v1, s6, 1, v3
	s_waitcnt lgkmcnt(0)
	v_cmpx_gt_u64_e64 s[12:13], v[1:2]
	s_cbranch_execz .LBB0_2
; %bb.1:
	s_clause 0x2
	s_load_dwordx4 s[8:11], s[4:5], 0x0
	s_load_dwordx4 s[16:19], s[4:5], 0x18
	s_load_dwordx2 s[12:13], s[4:5], 0x38
	v_and_b32_e32 v2, 1, v3
	s_mov_b32 s24, 0xf8bb580b
	s_mov_b32 s28, 0xfd768dbf
	;; [unrolled: 1-line block ×4, first 2 shown]
	v_cmp_eq_u32_e32 vcc_lo, 1, v2
	s_mov_b32 s22, 0x8764f0ba
	s_mov_b32 s30, 0x9bcd5057
	;; [unrolled: 1-line block ×4, first 2 shown]
	v_cndmask_b32_e64 v120, 0, 0x5330, vcc_lo
	s_mov_b32 s35, 0x3fd207e7
	s_mov_b32 s34, s28
	;; [unrolled: 1-line block ×5, first 2 shown]
	s_waitcnt lgkmcnt(0)
	s_load_dwordx4 s[0:3], s[18:19], 0x0
	s_load_dwordx4 s[4:7], s[16:17], 0x0
	s_mov_b32 s16, 0xbb3a28a1
	s_mov_b32 s17, 0xbfe82f19
	;; [unrolled: 1-line block ×4, first 2 shown]
	s_waitcnt lgkmcnt(0)
	v_mad_u64_u32 v[136:137], null, s2, v1, 0
	v_mov_b32_e32 v2, v137
	v_mad_u64_u32 v[4:5], null, s3, v1, v[2:3]
	s_mul_hi_u32 s3, s4, 0x790
	v_mov_b32_e32 v137, v4
	v_mad_u64_u32 v[4:5], null, s6, v1, 0
	v_mov_b32_e32 v2, v5
	v_mad_u64_u32 v[1:2], null, s7, v1, v[2:3]
	s_mov_b32 s6, 0xd9c712b6
	s_mov_b32 s7, 0x3fda9628
	v_mov_b32_e32 v5, v1
	v_mul_lo_u16 v1, 0x79, v3
	v_sub_nc_u16 v100, v0, v1
	v_and_b32_e32 v187, 0xffff, v100
	v_mad_u64_u32 v[0:1], null, s4, v187, 0
	v_lshlrev_b32_e32 v10, 4, v187
	v_mad_u64_u32 v[176:177], null, 0xa0, v187, s[10:11]
	global_load_dwordx4 v[40:43], v10, s[8:9]
	v_mad_u64_u32 v[1:2], null, s5, v187, v[1:2]
	v_lshlrev_b64 v[2:3], 4, v[4:5]
	v_add_co_u32 v162, s2, s8, v10
	v_add_co_ci_u32_e64 v163, null, s9, 0, s2
	s_mul_i32 s2, s5, 0x790
	v_lshlrev_b64 v[0:1], 4, v[0:1]
	v_add_co_u32 v2, vcc_lo, s14, v2
	v_add_co_ci_u32_e32 v3, vcc_lo, s15, v3, vcc_lo
	s_add_i32 s2, s3, s2
	v_add_co_u32 v8, vcc_lo, v2, v0
	v_add_co_ci_u32_e32 v9, vcc_lo, v3, v1, vcc_lo
	s_mul_i32 s3, s4, 0x790
	v_add_nc_u32_e32 v186, v120, v10
	s_mov_b32 s4, 0x640f44db
	global_load_dwordx4 v[0:3], v[8:9], off
	v_add_co_u32 v8, vcc_lo, v8, s3
	v_add_co_ci_u32_e32 v9, vcc_lo, s2, v9, vcc_lo
	s_mov_b32 s5, 0xbfc2375f
	s_mov_b32 s15, 0x3fefac9e
	s_waitcnt vmcnt(0)
	v_mul_f64 v[4:5], v[2:3], v[42:43]
	v_fma_f64 v[4:5], v[0:1], v[40:41], v[4:5]
	v_mul_f64 v[0:1], v[0:1], v[42:43]
	v_fma_f64 v[6:7], v[2:3], v[40:41], -v[0:1]
	ds_write_b128 v186, v[4:7]
	global_load_dwordx4 v[0:3], v[8:9], off
	global_load_dwordx4 v[36:39], v10, s[8:9] offset:1936
	v_add_co_u32 v8, vcc_lo, v8, s3
	v_add_co_ci_u32_e32 v9, vcc_lo, s2, v9, vcc_lo
	s_mov_b32 s8, 0x8eee2c13
	s_mov_b32 s9, 0xbfed1bb4
	;; [unrolled: 1-line block ×3, first 2 shown]
	s_waitcnt vmcnt(0)
	v_mul_f64 v[4:5], v[2:3], v[38:39]
	v_fma_f64 v[4:5], v[0:1], v[36:37], v[4:5]
	v_mul_f64 v[0:1], v[0:1], v[38:39]
	v_fma_f64 v[6:7], v[2:3], v[36:37], -v[0:1]
	global_load_dwordx4 v[0:3], v[8:9], off
	ds_write_b128 v186, v[4:7] offset:1936
	v_add_co_u32 v4, vcc_lo, 0x800, v162
	v_add_co_ci_u32_e32 v5, vcc_lo, 0, v163, vcc_lo
	v_add_co_u32 v8, vcc_lo, v8, s3
	v_add_co_ci_u32_e32 v9, vcc_lo, s2, v9, vcc_lo
	global_load_dwordx4 v[24:27], v[4:5], off offset:1824
	s_waitcnt vmcnt(0)
	v_mul_f64 v[4:5], v[2:3], v[26:27]
	v_fma_f64 v[4:5], v[0:1], v[24:25], v[4:5]
	v_mul_f64 v[0:1], v[0:1], v[26:27]
	v_fma_f64 v[6:7], v[2:3], v[24:25], -v[0:1]
	global_load_dwordx4 v[0:3], v[8:9], off
	ds_write_b128 v186, v[4:7] offset:3872
	v_add_co_u32 v4, vcc_lo, 0x1000, v162
	v_add_co_ci_u32_e32 v5, vcc_lo, 0, v163, vcc_lo
	v_add_co_u32 v12, vcc_lo, v8, s3
	v_add_co_ci_u32_e32 v13, vcc_lo, s2, v9, vcc_lo
	global_load_dwordx4 v[32:35], v[4:5], off offset:1712
	;; [unrolled: 12-line block ×7, first 2 shown]
	s_waitcnt vmcnt(0)
	v_mul_f64 v[4:5], v[2:3], v[18:19]
	v_fma_f64 v[4:5], v[0:1], v[16:17], v[4:5]
	v_mul_f64 v[0:1], v[0:1], v[18:19]
	v_fma_f64 v[6:7], v[2:3], v[16:17], -v[0:1]
	global_load_dwordx4 v[0:3], v[48:49], off
	ds_write_b128 v186, v[4:7] offset:15488
	v_add_co_u32 v4, vcc_lo, 0x4000, v162
	v_add_co_ci_u32_e32 v5, vcc_lo, 0, v163, vcc_lo
	global_load_dwordx4 v[4:7], v[4:5], off offset:1040
	s_waitcnt vmcnt(0)
	v_mul_f64 v[44:45], v[2:3], v[6:7]
	v_fma_f64 v[44:45], v[0:1], v[4:5], v[44:45]
	v_mul_f64 v[0:1], v[0:1], v[6:7]
	v_fma_f64 v[46:47], v[2:3], v[4:5], -v[0:1]
	v_add_co_u32 v0, vcc_lo, v48, s3
	v_add_co_ci_u32_e32 v1, vcc_lo, s2, v49, vcc_lo
	s_mov_b32 s2, 0x43842ef
	s_mov_b32 s3, 0xbfefac9e
	;; [unrolled: 1-line block ×3, first 2 shown]
	ds_write_b128 v186, v[44:47] offset:17424
	global_load_dwordx4 v[44:47], v[0:1], off
	v_add_co_u32 v0, vcc_lo, 0x4800, v162
	v_add_co_ci_u32_e32 v1, vcc_lo, 0, v163, vcc_lo
	global_load_dwordx4 v[0:3], v[0:1], off offset:928
	s_waitcnt vmcnt(0)
	v_mul_f64 v[48:49], v[46:47], v[2:3]
	v_fma_f64 v[48:49], v[44:45], v[0:1], v[48:49]
	v_mul_f64 v[44:45], v[44:45], v[2:3]
	v_fma_f64 v[50:51], v[46:47], v[0:1], -v[44:45]
	ds_write_b128 v186, v[48:51] offset:19360
	s_waitcnt lgkmcnt(0)
	s_barrier
	buffer_gl0_inv
	ds_read_b128 v[56:59], v186
	ds_read_b128 v[60:63], v186 offset:1936
	ds_read_b128 v[64:67], v186 offset:3872
	;; [unrolled: 1-line block ×10, first 2 shown]
	s_waitcnt lgkmcnt(0)
	s_barrier
	buffer_gl0_inv
	v_add_f64 v[44:45], v[56:57], v[60:61]
	v_add_f64 v[46:47], v[58:59], v[62:63]
	;; [unrolled: 1-line block ×3, first 2 shown]
	v_add_f64 v[62:63], v[62:63], -v[90:91]
	v_add_f64 v[92:93], v[60:61], v[88:89]
	v_add_f64 v[60:61], v[60:61], -v[88:89]
	v_add_f64 v[44:45], v[44:45], v[64:65]
	v_add_f64 v[46:47], v[46:47], v[66:67]
	v_mul_f64 v[101:102], v[62:63], s[8:9]
	v_mul_f64 v[109:110], v[62:63], s[2:3]
	;; [unrolled: 1-line block ×8, first 2 shown]
	v_add_f64 v[44:45], v[44:45], v[68:69]
	v_add_f64 v[46:47], v[46:47], v[70:71]
	v_fma_f64 v[103:104], v[92:93], s[6:7], -v[101:102]
	v_fma_f64 v[101:102], v[92:93], s[6:7], v[101:102]
	v_fma_f64 v[111:112], v[92:93], s[4:5], -v[109:110]
	v_fma_f64 v[109:110], v[92:93], s[4:5], v[109:110]
	;; [unrolled: 2-line block ×3, first 2 shown]
	v_fma_f64 v[98:99], v[94:95], s[22:23], v[96:97]
	v_fma_f64 v[96:97], v[94:95], s[22:23], -v[96:97]
	v_fma_f64 v[107:108], v[94:95], s[6:7], v[105:106]
	v_fma_f64 v[105:106], v[94:95], s[6:7], -v[105:106]
	;; [unrolled: 2-line block ×3, first 2 shown]
	v_add_f64 v[44:45], v[44:45], v[72:73]
	v_add_f64 v[46:47], v[46:47], v[74:75]
	v_fma_f64 v[125:126], v[94:95], s[18:19], v[123:124]
	v_fma_f64 v[123:124], v[94:95], s[18:19], -v[123:124]
	v_fma_f64 v[129:130], v[94:95], s[30:31], v[60:61]
	v_fma_f64 v[60:61], v[94:95], s[30:31], -v[60:61]
	v_add_f64 v[103:104], v[56:57], v[103:104]
	v_add_f64 v[101:102], v[56:57], v[101:102]
	;; [unrolled: 1-line block ×19, first 2 shown]
	v_add_f64 v[64:65], v[64:65], -v[84:85]
	v_add_f64 v[44:45], v[44:45], v[52:53]
	v_add_f64 v[46:47], v[46:47], v[54:55]
	;; [unrolled: 1-line block ×9, first 2 shown]
	v_mul_f64 v[88:89], v[62:63], s[24:25]
	v_mul_f64 v[62:63], v[62:63], s[28:29]
	v_add_f64 v[46:47], v[46:47], v[90:91]
	v_fma_f64 v[90:91], v[92:93], s[22:23], -v[88:89]
	v_fma_f64 v[88:89], v[92:93], s[22:23], v[88:89]
	v_fma_f64 v[127:128], v[92:93], s[30:31], -v[62:63]
	v_fma_f64 v[62:63], v[92:93], s[30:31], v[62:63]
	v_add_f64 v[90:91], v[56:57], v[90:91]
	v_add_f64 v[88:89], v[56:57], v[88:89]
	;; [unrolled: 1-line block ×5, first 2 shown]
	v_add_f64 v[66:67], v[66:67], -v[86:87]
	v_mul_f64 v[84:85], v[66:67], s[8:9]
	v_fma_f64 v[86:87], v[60:61], s[6:7], -v[84:85]
	v_fma_f64 v[84:85], v[60:61], s[6:7], v[84:85]
	v_add_f64 v[86:87], v[86:87], v[90:91]
	v_mul_f64 v[90:91], v[64:65], s[8:9]
	v_add_f64 v[84:85], v[84:85], v[88:89]
	v_fma_f64 v[92:93], v[62:63], s[6:7], v[90:91]
	v_fma_f64 v[88:89], v[62:63], s[6:7], -v[90:91]
	v_mul_f64 v[90:91], v[66:67], s[16:17]
	v_add_f64 v[92:93], v[92:93], v[98:99]
	v_add_f64 v[88:89], v[88:89], v[96:97]
	v_fma_f64 v[94:95], v[60:61], s[18:19], -v[90:91]
	v_fma_f64 v[90:91], v[60:61], s[18:19], v[90:91]
	v_mul_f64 v[96:97], v[64:65], s[16:17]
	v_add_f64 v[94:95], v[94:95], v[103:104]
	v_add_f64 v[90:91], v[90:91], v[101:102]
	v_mul_f64 v[101:102], v[66:67], s[34:35]
	v_fma_f64 v[98:99], v[62:63], s[18:19], v[96:97]
	v_fma_f64 v[96:97], v[62:63], s[18:19], -v[96:97]
	v_fma_f64 v[103:104], v[60:61], s[30:31], -v[101:102]
	v_fma_f64 v[101:102], v[60:61], s[30:31], v[101:102]
	v_add_f64 v[96:97], v[96:97], v[105:106]
	v_mul_f64 v[105:106], v[64:65], s[34:35]
	v_add_f64 v[98:99], v[98:99], v[107:108]
	v_add_f64 v[103:104], v[103:104], v[111:112]
	;; [unrolled: 1-line block ×3, first 2 shown]
	v_mul_f64 v[109:110], v[66:67], s[14:15]
	v_fma_f64 v[107:108], v[62:63], s[30:31], v[105:106]
	v_fma_f64 v[105:106], v[62:63], s[30:31], -v[105:106]
	v_mul_f64 v[66:67], v[66:67], s[26:27]
	v_fma_f64 v[111:112], v[60:61], s[4:5], -v[109:110]
	v_fma_f64 v[109:110], v[60:61], s[4:5], v[109:110]
	v_add_f64 v[105:106], v[105:106], v[113:114]
	v_mul_f64 v[113:114], v[64:65], s[14:15]
	v_mul_f64 v[64:65], v[64:65], s[26:27]
	v_add_f64 v[107:108], v[107:108], v[115:116]
	v_add_f64 v[111:112], v[111:112], v[121:122]
	;; [unrolled: 1-line block ×3, first 2 shown]
	v_fma_f64 v[117:118], v[60:61], s[22:23], -v[66:67]
	v_fma_f64 v[60:61], v[60:61], s[22:23], v[66:67]
	v_add_f64 v[66:67], v[70:71], -v[82:83]
	v_fma_f64 v[121:122], v[62:63], s[22:23], v[64:65]
	v_fma_f64 v[115:116], v[62:63], s[4:5], v[113:114]
	v_fma_f64 v[113:114], v[62:63], s[4:5], -v[113:114]
	v_add_f64 v[117:118], v[117:118], v[127:128]
	v_add_f64 v[56:57], v[60:61], v[56:57]
	v_fma_f64 v[60:61], v[62:63], s[22:23], -v[64:65]
	v_add_f64 v[64:65], v[68:69], -v[80:81]
	v_add_f64 v[62:63], v[70:71], v[82:83]
	v_add_f64 v[113:114], v[113:114], v[123:124]
	;; [unrolled: 1-line block ×7, first 2 shown]
	v_mul_f64 v[68:69], v[66:67], s[2:3]
	v_mul_f64 v[80:81], v[64:65], s[2:3]
	v_fma_f64 v[70:71], v[60:61], s[4:5], -v[68:69]
	v_fma_f64 v[68:69], v[60:61], s[4:5], v[68:69]
	v_fma_f64 v[82:83], v[62:63], s[4:5], v[80:81]
	v_fma_f64 v[80:81], v[62:63], s[4:5], -v[80:81]
	v_add_f64 v[70:71], v[70:71], v[86:87]
	v_add_f64 v[68:69], v[68:69], v[84:85]
	v_mul_f64 v[84:85], v[66:67], s[34:35]
	v_add_f64 v[80:81], v[80:81], v[88:89]
	v_mul_f64 v[88:89], v[64:65], s[34:35]
	v_add_f64 v[82:83], v[82:83], v[92:93]
	v_fma_f64 v[86:87], v[60:61], s[30:31], -v[84:85]
	v_fma_f64 v[84:85], v[60:61], s[30:31], v[84:85]
	v_fma_f64 v[92:93], v[62:63], s[30:31], v[88:89]
	v_add_f64 v[86:87], v[86:87], v[94:95]
	v_add_f64 v[123:124], v[84:85], v[90:91]
	v_fma_f64 v[84:85], v[62:63], s[30:31], -v[88:89]
	v_add_f64 v[98:99], v[92:93], v[98:99]
	v_add_f64 v[96:97], v[84:85], v[96:97]
	v_mul_f64 v[84:85], v[66:67], s[20:21]
	v_fma_f64 v[88:89], v[60:61], s[6:7], -v[84:85]
	v_fma_f64 v[84:85], v[60:61], s[6:7], v[84:85]
	v_add_f64 v[103:104], v[88:89], v[103:104]
	v_mul_f64 v[88:89], v[64:65], s[20:21]
	v_add_f64 v[101:102], v[84:85], v[101:102]
	v_fma_f64 v[84:85], v[62:63], s[6:7], -v[88:89]
	v_fma_f64 v[90:91], v[62:63], s[6:7], v[88:89]
	v_add_f64 v[105:106], v[84:85], v[105:106]
	v_mul_f64 v[84:85], v[66:67], s[24:25]
	v_mul_f64 v[66:67], v[66:67], s[16:17]
	v_add_f64 v[107:108], v[90:91], v[107:108]
	v_fma_f64 v[88:89], v[60:61], s[22:23], -v[84:85]
	v_fma_f64 v[84:85], v[60:61], s[22:23], v[84:85]
	v_add_f64 v[111:112], v[88:89], v[111:112]
	v_mul_f64 v[88:89], v[64:65], s[24:25]
	v_add_f64 v[109:110], v[84:85], v[109:110]
	v_mul_f64 v[64:65], v[64:65], s[16:17]
	v_fma_f64 v[84:85], v[62:63], s[22:23], -v[88:89]
	v_fma_f64 v[90:91], v[62:63], s[22:23], v[88:89]
	v_add_f64 v[113:114], v[84:85], v[113:114]
	v_fma_f64 v[84:85], v[60:61], s[18:19], -v[66:67]
	v_fma_f64 v[60:61], v[60:61], s[18:19], v[66:67]
	v_add_f64 v[115:116], v[90:91], v[115:116]
	v_add_f64 v[117:118], v[84:85], v[117:118]
	v_fma_f64 v[84:85], v[62:63], s[18:19], v[64:65]
	v_add_f64 v[56:57], v[60:61], v[56:57]
	v_fma_f64 v[60:61], v[62:63], s[18:19], -v[64:65]
	v_add_f64 v[62:63], v[74:75], -v[78:79]
	v_add_f64 v[121:122], v[84:85], v[121:122]
	v_add_f64 v[125:126], v[60:61], v[58:59]
	;; [unrolled: 1-line block ×3, first 2 shown]
	v_mul_f64 v[64:65], v[62:63], s[16:17]
	v_add_f64 v[60:61], v[72:73], -v[76:77]
	v_fma_f64 v[66:67], v[58:59], s[18:19], -v[64:65]
	v_fma_f64 v[64:65], v[58:59], s[18:19], v[64:65]
	v_add_f64 v[92:93], v[66:67], v[70:71]
	v_mul_f64 v[66:67], v[60:61], s[16:17]
	v_add_f64 v[90:91], v[64:65], v[68:69]
	v_fma_f64 v[64:65], v[127:128], s[18:19], -v[66:67]
	v_fma_f64 v[70:71], v[127:128], s[18:19], v[66:67]
	v_add_f64 v[88:89], v[64:65], v[80:81]
	v_mul_f64 v[64:65], v[62:63], s[14:15]
	v_add_f64 v[94:95], v[70:71], v[82:83]
	v_mul_f64 v[70:71], v[60:61], s[28:29]
	v_fma_f64 v[66:67], v[58:59], s[4:5], -v[64:65]
	v_fma_f64 v[64:65], v[58:59], s[4:5], v[64:65]
	v_add_f64 v[84:85], v[66:67], v[86:87]
	v_mul_f64 v[66:67], v[60:61], s[14:15]
	v_add_f64 v[82:83], v[64:65], v[123:124]
	v_fma_f64 v[64:65], v[127:128], s[4:5], -v[66:67]
	v_fma_f64 v[68:69], v[127:128], s[4:5], v[66:67]
	v_add_f64 v[80:81], v[64:65], v[96:97]
	v_mul_f64 v[64:65], v[62:63], s[24:25]
	v_add_f64 v[86:87], v[68:69], v[98:99]
	v_mul_f64 v[96:97], v[62:63], s[20:21]
	v_mul_f64 v[98:99], v[60:61], s[20:21]
	v_fma_f64 v[66:67], v[58:59], s[22:23], -v[64:65]
	v_fma_f64 v[64:65], v[58:59], s[22:23], v[64:65]
	v_add_f64 v[76:77], v[66:67], v[103:104]
	v_mul_f64 v[66:67], v[60:61], s[24:25]
	v_add_f64 v[74:75], v[64:65], v[101:102]
	v_fma_f64 v[60:61], v[127:128], s[6:7], v[98:99]
	v_fma_f64 v[68:69], v[127:128], s[22:23], v[66:67]
	v_fma_f64 v[64:65], v[127:128], s[22:23], -v[66:67]
	v_fma_f64 v[66:67], v[127:128], s[30:31], v[70:71]
	v_fma_f64 v[70:71], v[127:128], s[30:31], -v[70:71]
	v_add_f64 v[60:61], v[60:61], v[121:122]
	v_add_f64 v[78:79], v[68:69], v[107:108]
	v_mul_f64 v[68:69], v[62:63], s[28:29]
	v_add_f64 v[72:73], v[64:65], v[105:106]
	v_fma_f64 v[62:63], v[58:59], s[6:7], -v[96:97]
	v_add_f64 v[70:71], v[70:71], v[113:114]
	v_add_f64 v[66:67], v[66:67], v[115:116]
	v_fma_f64 v[64:65], v[58:59], s[30:31], -v[68:69]
	v_fma_f64 v[68:69], v[58:59], s[30:31], v[68:69]
	v_fma_f64 v[58:59], v[58:59], s[6:7], v[96:97]
	v_add_f64 v[96:97], v[50:51], v[54:55]
	v_add_f64 v[54:55], v[50:51], -v[54:55]
	v_add_f64 v[62:63], v[62:63], v[117:118]
	v_add_f64 v[64:65], v[64:65], v[111:112]
	;; [unrolled: 1-line block ×4, first 2 shown]
	v_fma_f64 v[56:57], v[127:128], s[6:7], -v[98:99]
	v_add_f64 v[98:99], v[48:49], v[52:53]
	v_mul_f64 v[101:102], v[54:55], s[28:29]
	v_add_f64 v[52:53], v[48:49], -v[52:53]
	v_add_f64 v[56:57], v[56:57], v[125:126]
	v_fma_f64 v[48:49], v[98:99], s[30:31], -v[101:102]
	v_add_f64 v[48:49], v[48:49], v[92:93]
	v_mul_f64 v[92:93], v[52:53], s[28:29]
	v_fma_f64 v[50:51], v[96:97], s[30:31], v[92:93]
	v_fma_f64 v[92:93], v[96:97], s[30:31], -v[92:93]
	v_add_f64 v[50:51], v[50:51], v[94:95]
	v_fma_f64 v[94:95], v[98:99], s[30:31], v[101:102]
	v_add_f64 v[92:93], v[92:93], v[88:89]
	v_mul_f64 v[88:89], v[54:55], s[26:27]
	v_add_f64 v[90:91], v[94:95], v[90:91]
	v_fma_f64 v[94:95], v[98:99], s[22:23], -v[88:89]
	v_fma_f64 v[88:89], v[98:99], s[22:23], v[88:89]
	v_add_f64 v[84:85], v[94:95], v[84:85]
	v_mul_f64 v[94:95], v[52:53], s[26:27]
	v_fma_f64 v[101:102], v[96:97], s[22:23], v[94:95]
	v_add_f64 v[86:87], v[101:102], v[86:87]
	v_add_f64 v[101:102], v[88:89], v[82:83]
	v_fma_f64 v[82:83], v[96:97], s[22:23], -v[94:95]
	v_add_f64 v[103:104], v[82:83], v[80:81]
	v_mul_f64 v[80:81], v[54:55], s[16:17]
	v_fma_f64 v[82:83], v[98:99], s[18:19], -v[80:81]
	v_fma_f64 v[80:81], v[98:99], s[18:19], v[80:81]
	v_add_f64 v[76:77], v[82:83], v[76:77]
	v_mul_f64 v[82:83], v[52:53], s[16:17]
	v_add_f64 v[80:81], v[80:81], v[74:75]
	v_fma_f64 v[74:75], v[96:97], s[18:19], -v[82:83]
	v_fma_f64 v[88:89], v[96:97], s[18:19], v[82:83]
	v_add_f64 v[82:83], v[74:75], v[72:73]
	v_mul_f64 v[72:73], v[54:55], s[20:21]
	v_mul_f64 v[54:55], v[54:55], s[2:3]
	v_add_f64 v[78:79], v[88:89], v[78:79]
	v_fma_f64 v[74:75], v[98:99], s[6:7], -v[72:73]
	v_fma_f64 v[72:73], v[98:99], s[6:7], v[72:73]
	v_add_f64 v[64:65], v[74:75], v[64:65]
	v_mul_f64 v[74:75], v[52:53], s[20:21]
	v_add_f64 v[68:69], v[72:73], v[68:69]
	v_fma_f64 v[72:73], v[96:97], s[6:7], -v[74:75]
	v_fma_f64 v[88:89], v[96:97], s[6:7], v[74:75]
	v_add_f64 v[70:71], v[72:73], v[70:71]
	v_fma_f64 v[72:73], v[98:99], s[4:5], -v[54:55]
	v_add_f64 v[66:67], v[88:89], v[66:67]
	v_add_f64 v[72:73], v[72:73], v[62:63]
	v_mul_f64 v[62:63], v[52:53], s[2:3]
	v_fma_f64 v[52:53], v[96:97], s[4:5], v[62:63]
	v_add_f64 v[74:75], v[52:53], v[60:61]
	v_fma_f64 v[52:53], v[98:99], s[4:5], v[54:55]
	v_fma_f64 v[54:55], v[96:97], s[4:5], -v[62:63]
	v_add_f64 v[52:53], v[52:53], v[58:59]
	v_add_f64 v[54:55], v[54:55], v[56:57]
	v_mul_lo_u16 v56, v100, 11
	v_and_b32_e32 v56, 0xffff, v56
	v_lshl_add_u32 v188, v56, 4, v120
	ds_write_b128 v188, v[44:47]
	ds_write_b128 v188, v[48:51] offset:16
	ds_write_b128 v188, v[84:87] offset:32
	;; [unrolled: 1-line block ×10, first 2 shown]
	v_and_b32_e32 v44, 0xff, v100
	s_waitcnt lgkmcnt(0)
	s_barrier
	buffer_gl0_inv
	ds_read_b128 v[88:91], v186
	ds_read_b128 v[56:59], v186 offset:1936
	ds_read_b128 v[60:63], v186 offset:3872
	;; [unrolled: 1-line block ×10, first 2 shown]
	v_mul_lo_u16 v44, 0x75, v44
	v_lshrrev_b16 v44, 8, v44
	v_sub_nc_u16 v45, v100, v44
	v_lshrrev_b16 v45, 1, v45
	v_and_b32_e32 v45, 0x7f, v45
	v_add_nc_u16 v44, v45, v44
	v_lshrrev_b16 v122, 3, v44
	v_mul_lo_u16 v44, v122, 11
	v_sub_nc_u16 v121, v100, v44
	v_mov_b32_e32 v44, 10
	v_mul_u32_u24_sdwa v44, v121, v44 dst_sel:DWORD dst_unused:UNUSED_PAD src0_sel:BYTE_0 src1_sel:DWORD
	v_lshlrev_b32_e32 v135, 4, v44
	s_clause 0x3
	global_load_dwordx4 v[44:47], v135, s[10:11] offset:48
	global_load_dwordx4 v[48:51], v135, s[10:11] offset:32
	;; [unrolled: 1-line block ×3, first 2 shown]
	global_load_dwordx4 v[76:79], v135, s[10:11]
	s_waitcnt vmcnt(0) lgkmcnt(9)
	v_mul_f64 v[72:73], v[58:59], v[78:79]
	v_fma_f64 v[142:143], v[56:57], v[76:77], -v[72:73]
	v_mul_f64 v[56:57], v[56:57], v[78:79]
	v_fma_f64 v[144:145], v[58:59], v[76:77], v[56:57]
	s_waitcnt lgkmcnt(8)
	v_mul_f64 v[56:57], v[62:63], v[54:55]
	v_fma_f64 v[118:119], v[60:61], v[52:53], -v[56:57]
	v_mul_f64 v[56:57], v[60:61], v[54:55]
	v_fma_f64 v[116:117], v[62:63], v[52:53], v[56:57]
	s_waitcnt lgkmcnt(7)
	;; [unrolled: 5-line block ×3, first 2 shown]
	v_mul_f64 v[56:57], v[70:71], v[46:47]
	v_fma_f64 v[104:105], v[68:69], v[44:45], -v[56:57]
	v_mul_f64 v[56:57], v[68:69], v[46:47]
	v_fma_f64 v[100:101], v[70:71], v[44:45], v[56:57]
	s_clause 0x3
	global_load_dwordx4 v[60:63], v135, s[10:11] offset:112
	global_load_dwordx4 v[64:67], v135, s[10:11] offset:96
	global_load_dwordx4 v[68:71], v135, s[10:11] offset:80
	global_load_dwordx4 v[72:75], v135, s[10:11] offset:64
	s_waitcnt vmcnt(0) lgkmcnt(5)
	v_mul_f64 v[56:57], v[82:83], v[74:75]
	v_fma_f64 v[96:97], v[80:81], v[72:73], -v[56:57]
	v_mul_f64 v[56:57], v[80:81], v[74:75]
	v_fma_f64 v[92:93], v[82:83], v[72:73], v[56:57]
	s_waitcnt lgkmcnt(4)
	v_mul_f64 v[56:57], v[125:126], v[70:71]
	v_fma_f64 v[98:99], v[123:124], v[68:69], -v[56:57]
	v_mul_f64 v[56:57], v[123:124], v[70:71]
	v_fma_f64 v[94:95], v[125:126], v[68:69], v[56:57]
	s_waitcnt lgkmcnt(3)
	;; [unrolled: 5-line block ×3, first 2 shown]
	v_mul_f64 v[56:57], v[133:134], v[62:63]
	v_fma_f64 v[114:115], v[131:132], v[60:61], -v[56:57]
	v_mul_f64 v[56:57], v[131:132], v[62:63]
	v_fma_f64 v[110:111], v[133:134], v[60:61], v[56:57]
	s_clause 0x1
	global_load_dwordx4 v[56:59], v135, s[10:11] offset:144
	global_load_dwordx4 v[80:83], v135, s[10:11] offset:128
	s_waitcnt vmcnt(0) lgkmcnt(0)
	s_barrier
	buffer_gl0_inv
	s_mov_b32 s11, 0x3fe82f19
	s_mov_b32 s10, s16
	v_mul_f64 v[127:128], v[86:87], v[58:59]
	v_mul_f64 v[125:126], v[138:139], v[82:83]
	;; [unrolled: 1-line block ×3, first 2 shown]
	v_fma_f64 v[127:128], v[84:85], v[56:57], -v[127:128]
	v_mul_f64 v[84:85], v[84:85], v[58:59]
	v_fma_f64 v[125:126], v[140:141], v[80:81], v[125:126]
	v_fma_f64 v[123:124], v[138:139], v[80:81], -v[123:124]
	v_add_f64 v[131:132], v[142:143], v[127:128]
	v_fma_f64 v[129:130], v[86:87], v[56:57], v[84:85]
	v_add_f64 v[86:87], v[90:91], v[144:145]
	v_add_f64 v[84:85], v[88:89], v[142:143]
	;; [unrolled: 1-line block ×20, first 2 shown]
	v_add_f64 v[129:130], v[144:145], -v[129:130]
	v_add_f64 v[84:85], v[84:85], v[127:128]
	v_add_f64 v[127:128], v[142:143], -v[127:128]
	v_mul_f64 v[138:139], v[129:130], s[24:25]
	v_mul_f64 v[146:147], v[129:130], s[8:9]
	;; [unrolled: 1-line block ×10, first 2 shown]
	v_fma_f64 v[140:141], v[131:132], s[22:23], -v[138:139]
	v_fma_f64 v[138:139], v[131:132], s[22:23], v[138:139]
	v_fma_f64 v[148:149], v[131:132], s[6:7], -v[146:147]
	v_fma_f64 v[146:147], v[131:132], s[6:7], v[146:147]
	;; [unrolled: 2-line block ×5, first 2 shown]
	v_fma_f64 v[144:145], v[133:134], s[22:23], v[142:143]
	v_fma_f64 v[142:143], v[133:134], s[22:23], -v[142:143]
	v_fma_f64 v[152:153], v[133:134], s[6:7], v[150:151]
	v_fma_f64 v[150:151], v[133:134], s[6:7], -v[150:151]
	v_fma_f64 v[160:161], v[133:134], s[4:5], v[158:159]
	v_fma_f64 v[158:159], v[133:134], s[4:5], -v[158:159]
	v_fma_f64 v[170:171], v[133:134], s[18:19], v[168:169]
	v_fma_f64 v[168:169], v[133:134], s[18:19], -v[168:169]
	v_fma_f64 v[174:175], v[133:134], s[30:31], v[127:128]
	v_fma_f64 v[127:128], v[133:134], s[30:31], -v[127:128]
	v_add_f64 v[140:141], v[88:89], v[140:141]
	v_add_f64 v[138:139], v[88:89], v[138:139]
	;; [unrolled: 1-line block ×11, first 2 shown]
	v_add_f64 v[116:117], v[116:117], -v[125:126]
	v_add_f64 v[144:145], v[90:91], v[144:145]
	v_add_f64 v[142:143], v[90:91], v[142:143]
	;; [unrolled: 1-line block ×11, first 2 shown]
	v_add_f64 v[118:119], v[118:119], -v[123:124]
	v_mul_f64 v[123:124], v[116:117], s[8:9]
	v_mul_f64 v[131:132], v[118:119], s[8:9]
	v_fma_f64 v[125:126], v[127:128], s[6:7], -v[123:124]
	v_fma_f64 v[123:124], v[127:128], s[6:7], v[123:124]
	v_fma_f64 v[133:134], v[129:130], s[6:7], v[131:132]
	v_fma_f64 v[131:132], v[129:130], s[6:7], -v[131:132]
	v_add_f64 v[125:126], v[125:126], v[140:141]
	v_add_f64 v[123:124], v[123:124], v[138:139]
	v_mul_f64 v[138:139], v[116:117], s[16:17]
	v_add_f64 v[133:134], v[133:134], v[144:145]
	v_add_f64 v[131:132], v[131:132], v[142:143]
	v_mul_f64 v[142:143], v[118:119], s[16:17]
	v_fma_f64 v[140:141], v[127:128], s[18:19], -v[138:139]
	v_fma_f64 v[138:139], v[127:128], s[18:19], v[138:139]
	v_fma_f64 v[144:145], v[129:130], s[18:19], v[142:143]
	v_fma_f64 v[142:143], v[129:130], s[18:19], -v[142:143]
	v_add_f64 v[140:141], v[140:141], v[148:149]
	v_add_f64 v[138:139], v[138:139], v[146:147]
	v_mul_f64 v[146:147], v[116:117], s[34:35]
	v_add_f64 v[144:145], v[144:145], v[152:153]
	v_add_f64 v[142:143], v[142:143], v[150:151]
	v_mul_f64 v[150:151], v[118:119], s[34:35]
	v_fma_f64 v[148:149], v[127:128], s[30:31], -v[146:147]
	v_fma_f64 v[146:147], v[127:128], s[30:31], v[146:147]
	v_fma_f64 v[152:153], v[129:130], s[30:31], v[150:151]
	v_fma_f64 v[150:151], v[129:130], s[30:31], -v[150:151]
	v_add_f64 v[148:149], v[148:149], v[156:157]
	v_add_f64 v[146:147], v[146:147], v[154:155]
	v_mul_f64 v[154:155], v[116:117], s[14:15]
	v_mul_f64 v[116:117], v[116:117], s[26:27]
	v_add_f64 v[152:153], v[152:153], v[160:161]
	v_add_f64 v[150:151], v[150:151], v[158:159]
	v_mul_f64 v[158:159], v[118:119], s[14:15]
	v_mul_f64 v[118:119], v[118:119], s[26:27]
	v_fma_f64 v[156:157], v[127:128], s[4:5], -v[154:155]
	v_fma_f64 v[154:155], v[127:128], s[4:5], v[154:155]
	v_fma_f64 v[160:161], v[129:130], s[4:5], v[158:159]
	v_fma_f64 v[158:159], v[129:130], s[4:5], -v[158:159]
	v_add_f64 v[156:157], v[156:157], v[166:167]
	v_add_f64 v[154:155], v[154:155], v[164:165]
	v_fma_f64 v[164:165], v[127:128], s[22:23], -v[116:117]
	v_fma_f64 v[116:117], v[127:128], s[22:23], v[116:117]
	v_fma_f64 v[166:167], v[129:130], s[22:23], v[118:119]
	v_add_f64 v[160:161], v[160:161], v[170:171]
	v_add_f64 v[158:159], v[158:159], v[168:169]
	;; [unrolled: 1-line block ×4, first 2 shown]
	v_fma_f64 v[116:117], v[129:130], s[22:23], -v[118:119]
	v_add_f64 v[118:119], v[108:109], v[110:111]
	v_add_f64 v[108:109], v[108:109], -v[110:111]
	v_add_f64 v[166:167], v[166:167], v[174:175]
	v_add_f64 v[90:91], v[116:117], v[90:91]
	;; [unrolled: 1-line block ×3, first 2 shown]
	v_mul_f64 v[110:111], v[108:109], s[2:3]
	v_add_f64 v[112:113], v[112:113], -v[114:115]
	v_fma_f64 v[114:115], v[116:117], s[4:5], -v[110:111]
	v_fma_f64 v[110:111], v[116:117], s[4:5], v[110:111]
	v_add_f64 v[114:115], v[114:115], v[125:126]
	v_mul_f64 v[125:126], v[112:113], s[2:3]
	v_add_f64 v[110:111], v[110:111], v[123:124]
	v_fma_f64 v[127:128], v[118:119], s[4:5], v[125:126]
	v_fma_f64 v[123:124], v[118:119], s[4:5], -v[125:126]
	v_mul_f64 v[125:126], v[108:109], s[34:35]
	v_add_f64 v[127:128], v[127:128], v[133:134]
	v_add_f64 v[123:124], v[123:124], v[131:132]
	v_fma_f64 v[129:130], v[116:117], s[30:31], -v[125:126]
	v_fma_f64 v[125:126], v[116:117], s[30:31], v[125:126]
	v_mul_f64 v[131:132], v[112:113], s[34:35]
	v_add_f64 v[129:130], v[129:130], v[140:141]
	v_add_f64 v[125:126], v[125:126], v[138:139]
	v_mul_f64 v[138:139], v[108:109], s[20:21]
	v_fma_f64 v[133:134], v[118:119], s[30:31], v[131:132]
	v_fma_f64 v[131:132], v[118:119], s[30:31], -v[131:132]
	v_fma_f64 v[140:141], v[116:117], s[6:7], -v[138:139]
	v_fma_f64 v[138:139], v[116:117], s[6:7], v[138:139]
	v_add_f64 v[131:132], v[131:132], v[142:143]
	v_mul_f64 v[142:143], v[112:113], s[20:21]
	v_add_f64 v[133:134], v[133:134], v[144:145]
	v_add_f64 v[140:141], v[140:141], v[148:149]
	;; [unrolled: 1-line block ×3, first 2 shown]
	v_mul_f64 v[146:147], v[108:109], s[24:25]
	v_fma_f64 v[144:145], v[118:119], s[6:7], v[142:143]
	v_fma_f64 v[142:143], v[118:119], s[6:7], -v[142:143]
	v_mul_f64 v[108:109], v[108:109], s[16:17]
	v_fma_f64 v[148:149], v[116:117], s[22:23], -v[146:147]
	v_fma_f64 v[146:147], v[116:117], s[22:23], v[146:147]
	v_add_f64 v[142:143], v[142:143], v[150:151]
	v_mul_f64 v[150:151], v[112:113], s[24:25]
	v_mul_f64 v[112:113], v[112:113], s[16:17]
	v_add_f64 v[144:145], v[144:145], v[152:153]
	v_add_f64 v[148:149], v[148:149], v[156:157]
	;; [unrolled: 1-line block ×3, first 2 shown]
	v_fma_f64 v[154:155], v[116:117], s[18:19], -v[108:109]
	v_fma_f64 v[108:109], v[116:117], s[18:19], v[108:109]
	v_fma_f64 v[152:153], v[118:119], s[22:23], v[150:151]
	v_fma_f64 v[150:151], v[118:119], s[22:23], -v[150:151]
	v_fma_f64 v[156:157], v[118:119], s[18:19], v[112:113]
	v_add_f64 v[154:155], v[154:155], v[164:165]
	v_add_f64 v[88:89], v[108:109], v[88:89]
	v_fma_f64 v[108:109], v[118:119], s[18:19], -v[112:113]
	v_add_f64 v[118:119], v[100:101], v[102:103]
	v_add_f64 v[100:101], v[100:101], -v[102:103]
	v_add_f64 v[112:113], v[104:105], v[106:107]
	v_add_f64 v[104:105], v[104:105], -v[106:107]
	v_add_f64 v[150:151], v[150:151], v[158:159]
	v_add_f64 v[152:153], v[152:153], v[160:161]
	;; [unrolled: 1-line block ×4, first 2 shown]
	v_mul_f64 v[102:103], v[100:101], s[16:17]
	v_fma_f64 v[106:107], v[112:113], s[18:19], -v[102:103]
	v_fma_f64 v[102:103], v[112:113], s[18:19], v[102:103]
	v_add_f64 v[158:159], v[106:107], v[114:115]
	v_mul_f64 v[106:107], v[104:105], s[16:17]
	v_add_f64 v[160:161], v[102:103], v[110:111]
	v_fma_f64 v[102:103], v[118:119], s[18:19], -v[106:107]
	v_fma_f64 v[108:109], v[118:119], s[18:19], v[106:107]
	v_add_f64 v[123:124], v[102:103], v[123:124]
	v_mul_f64 v[102:103], v[100:101], s[14:15]
	v_add_f64 v[127:128], v[108:109], v[127:128]
	;; [unrolled: 5-line block ×5, first 2 shown]
	v_fma_f64 v[102:103], v[118:119], s[22:23], -v[106:107]
	v_fma_f64 v[108:109], v[118:119], s[22:23], v[106:107]
	v_add_f64 v[142:143], v[102:103], v[142:143]
	v_mul_f64 v[102:103], v[100:101], s[28:29]
	v_mul_f64 v[100:101], v[100:101], s[20:21]
	v_add_f64 v[144:145], v[108:109], v[144:145]
	v_fma_f64 v[106:107], v[112:113], s[30:31], -v[102:103]
	v_fma_f64 v[102:103], v[112:113], s[30:31], v[102:103]
	v_add_f64 v[148:149], v[106:107], v[148:149]
	v_mul_f64 v[106:107], v[104:105], s[28:29]
	v_add_f64 v[116:117], v[102:103], v[146:147]
	v_add_f64 v[146:147], v[92:93], -v[94:95]
	v_fma_f64 v[102:103], v[118:119], s[30:31], -v[106:107]
	v_fma_f64 v[108:109], v[118:119], s[30:31], v[106:107]
	v_add_f64 v[106:107], v[96:97], v[98:99]
	v_add_f64 v[114:115], v[102:103], v[150:151]
	v_fma_f64 v[102:103], v[112:113], s[6:7], -v[100:101]
	v_fma_f64 v[100:101], v[112:113], s[6:7], v[100:101]
	v_add_f64 v[112:113], v[96:97], -v[98:99]
	v_add_f64 v[152:153], v[108:109], v[152:153]
	v_add_f64 v[110:111], v[102:103], v[154:155]
	v_mul_f64 v[102:103], v[104:105], s[20:21]
	v_fma_f64 v[104:105], v[118:119], s[6:7], v[102:103]
	v_add_f64 v[108:109], v[104:105], v[156:157]
	v_add_f64 v[104:105], v[100:101], v[88:89]
	v_fma_f64 v[88:89], v[118:119], s[6:7], -v[102:103]
	v_add_f64 v[102:103], v[92:93], v[94:95]
	v_mul_f64 v[94:95], v[112:113], s[28:29]
	v_mul_f64 v[118:119], v[146:147], s[26:27]
	;; [unrolled: 1-line block ×3, first 2 shown]
	v_add_f64 v[100:101], v[88:89], v[90:91]
	v_fma_f64 v[90:91], v[102:103], s[30:31], v[94:95]
	v_fma_f64 v[94:95], v[102:103], s[30:31], -v[94:95]
	v_fma_f64 v[96:97], v[106:107], s[22:23], -v[118:119]
	v_fma_f64 v[118:119], v[106:107], s[22:23], v[118:119]
	v_fma_f64 v[88:89], v[106:107], s[30:31], -v[92:93]
	v_fma_f64 v[92:93], v[106:107], s[30:31], v[92:93]
	v_add_f64 v[90:91], v[90:91], v[127:128]
	v_mul_f64 v[127:128], v[112:113], s[26:27]
	v_add_f64 v[94:95], v[94:95], v[123:124]
	v_add_f64 v[123:124], v[118:119], v[125:126]
	;; [unrolled: 1-line block ×5, first 2 shown]
	v_fma_f64 v[118:119], v[102:103], s[22:23], -v[127:128]
	v_fma_f64 v[98:99], v[102:103], s[22:23], v[127:128]
	v_add_f64 v[125:126], v[118:119], v[131:132]
	v_mul_f64 v[118:119], v[146:147], s[16:17]
	v_add_f64 v[98:99], v[98:99], v[133:134]
	v_mul_f64 v[133:134], v[112:113], s[16:17]
	v_fma_f64 v[127:128], v[106:107], s[18:19], -v[118:119]
	v_fma_f64 v[118:119], v[106:107], s[18:19], v[118:119]
	v_fma_f64 v[129:130], v[102:103], s[18:19], v[133:134]
	v_add_f64 v[127:128], v[127:128], v[140:141]
	v_add_f64 v[131:132], v[118:119], v[138:139]
	v_fma_f64 v[118:119], v[102:103], s[18:19], -v[133:134]
	v_add_f64 v[129:130], v[129:130], v[144:145]
	v_add_f64 v[133:134], v[118:119], v[142:143]
	v_mul_f64 v[118:119], v[146:147], s[20:21]
	v_mul_f64 v[142:143], v[112:113], s[20:21]
	v_fma_f64 v[138:139], v[106:107], s[6:7], -v[118:119]
	v_fma_f64 v[118:119], v[106:107], s[6:7], v[118:119]
	v_fma_f64 v[140:141], v[102:103], s[6:7], v[142:143]
	v_add_f64 v[138:139], v[138:139], v[148:149]
	v_add_f64 v[116:117], v[118:119], v[116:117]
	v_fma_f64 v[118:119], v[102:103], s[6:7], -v[142:143]
	v_add_f64 v[140:141], v[140:141], v[152:153]
	v_add_f64 v[118:119], v[118:119], v[114:115]
	v_mul_f64 v[114:115], v[146:147], s[2:3]
	v_fma_f64 v[142:143], v[106:107], s[4:5], -v[114:115]
	v_fma_f64 v[106:107], v[106:107], s[4:5], v[114:115]
	v_add_f64 v[110:111], v[142:143], v[110:111]
	v_mul_f64 v[142:143], v[112:113], s[2:3]
	v_add_f64 v[104:105], v[106:107], v[104:105]
	v_fma_f64 v[112:113], v[102:103], s[4:5], v[142:143]
	v_fma_f64 v[102:103], v[102:103], s[4:5], -v[142:143]
	v_add_f64 v[112:113], v[112:113], v[108:109]
	v_add_f64 v[106:107], v[102:103], v[100:101]
	v_mov_b32_e32 v100, 0x79
	v_mul_u32_u24_sdwa v100, v122, v100 dst_sel:DWORD dst_unused:UNUSED_PAD src0_sel:WORD_0 src1_sel:DWORD
	v_add_nc_u32_sdwa v100, v100, v121 dst_sel:DWORD dst_unused:UNUSED_PAD src0_sel:DWORD src1_sel:BYTE_0
	v_lshl_add_u32 v189, v100, 4, v120
	ds_write_b128 v189, v[84:87]
	ds_write_b128 v189, v[88:91] offset:176
	ds_write_b128 v189, v[96:99] offset:352
	;; [unrolled: 1-line block ×10, first 2 shown]
	s_waitcnt lgkmcnt(0)
	s_barrier
	buffer_gl0_inv
	ds_read_b128 v[128:131], v186
	ds_read_b128 v[96:99], v186 offset:1936
	ds_read_b128 v[100:103], v186 offset:3872
	ds_read_b128 v[108:111], v186 offset:5808
	ds_read_b128 v[112:115], v186 offset:7744
	ds_read_b128 v[116:119], v186 offset:9680
	ds_read_b128 v[120:123], v186 offset:11616
	ds_read_b128 v[124:127], v186 offset:13552
	ds_read_b128 v[164:167], v186 offset:15488
	ds_read_b128 v[168:171], v186 offset:17424
	ds_read_b128 v[172:175], v186 offset:19360
	s_clause 0x3
	global_load_dwordx4 v[84:87], v[176:177], off offset:1808
	global_load_dwordx4 v[88:91], v[176:177], off offset:1792
	;; [unrolled: 1-line block ×4, first 2 shown]
	s_waitcnt vmcnt(0) lgkmcnt(9)
	v_mul_f64 v[132:133], v[98:99], v[106:107]
	v_fma_f64 v[178:179], v[96:97], v[104:105], -v[132:133]
	v_mul_f64 v[96:97], v[96:97], v[106:107]
	v_fma_f64 v[180:181], v[98:99], v[104:105], v[96:97]
	s_waitcnt lgkmcnt(8)
	v_mul_f64 v[96:97], v[102:103], v[94:95]
	v_fma_f64 v[158:159], v[100:101], v[92:93], -v[96:97]
	v_mul_f64 v[96:97], v[100:101], v[94:95]
	v_fma_f64 v[156:157], v[102:103], v[92:93], v[96:97]
	s_waitcnt lgkmcnt(7)
	;; [unrolled: 5-line block ×3, first 2 shown]
	v_mul_f64 v[96:97], v[114:115], v[86:87]
	v_fma_f64 v[144:145], v[112:113], v[84:85], -v[96:97]
	v_mul_f64 v[96:97], v[112:113], v[86:87]
	v_fma_f64 v[138:139], v[114:115], v[84:85], v[96:97]
	s_clause 0x3
	global_load_dwordx4 v[96:99], v[176:177], off offset:1872
	global_load_dwordx4 v[100:103], v[176:177], off offset:1856
	;; [unrolled: 1-line block ×4, first 2 shown]
	s_waitcnt vmcnt(0) lgkmcnt(5)
	v_mul_f64 v[132:133], v[118:119], v[114:115]
	v_fma_f64 v[140:141], v[116:117], v[112:113], -v[132:133]
	v_mul_f64 v[116:117], v[116:117], v[114:115]
	v_fma_f64 v[132:133], v[118:119], v[112:113], v[116:117]
	s_waitcnt lgkmcnt(4)
	v_mul_f64 v[116:117], v[122:123], v[110:111]
	v_fma_f64 v[142:143], v[120:121], v[108:109], -v[116:117]
	v_mul_f64 v[116:117], v[120:121], v[110:111]
	v_fma_f64 v[134:135], v[122:123], v[108:109], v[116:117]
	s_waitcnt lgkmcnt(3)
	;; [unrolled: 5-line block ×3, first 2 shown]
	v_mul_f64 v[116:117], v[166:167], v[98:99]
	v_add_f64 v[126:127], v[130:131], v[180:181]
	v_fma_f64 v[160:161], v[164:165], v[96:97], -v[116:117]
	v_mul_f64 v[116:117], v[164:165], v[98:99]
	v_add_f64 v[126:127], v[126:127], v[156:157]
	v_fma_f64 v[154:155], v[166:167], v[96:97], v[116:117]
	s_clause 0x1
	global_load_dwordx4 v[116:119], v[176:177], off offset:1904
	global_load_dwordx4 v[120:123], v[176:177], off offset:1888
	v_add_f64 v[126:127], v[126:127], v[148:149]
	v_add_f64 v[126:127], v[126:127], v[138:139]
	;; [unrolled: 1-line block ×6, first 2 shown]
	s_waitcnt vmcnt(0) lgkmcnt(1)
	v_mul_f64 v[124:125], v[170:171], v[122:123]
	v_fma_f64 v[164:165], v[168:169], v[120:121], -v[124:125]
	v_mul_f64 v[124:125], v[168:169], v[122:123]
	v_fma_f64 v[166:167], v[170:171], v[120:121], v[124:125]
	s_waitcnt lgkmcnt(0)
	v_mul_f64 v[124:125], v[174:175], v[118:119]
	v_add_f64 v[126:127], v[126:127], v[166:167]
	v_fma_f64 v[168:169], v[172:173], v[116:117], -v[124:125]
	v_mul_f64 v[124:125], v[172:173], v[118:119]
	v_add_f64 v[172:173], v[178:179], v[168:169]
	v_fma_f64 v[170:171], v[174:175], v[116:117], v[124:125]
	v_add_f64 v[124:125], v[128:129], v[178:179]
	v_add_f64 v[126:127], v[126:127], v[170:171]
	;; [unrolled: 1-line block ×4, first 2 shown]
	v_add_f64 v[170:171], v[180:181], -v[170:171]
	v_add_f64 v[124:125], v[124:125], v[152:153]
	v_mul_f64 v[176:177], v[170:171], s[24:25]
	v_mul_f64 v[184:185], v[170:171], s[8:9]
	;; [unrolled: 1-line block ×5, first 2 shown]
	v_add_f64 v[124:125], v[124:125], v[144:145]
	v_fma_f64 v[190:191], v[172:173], s[6:7], -v[184:185]
	v_fma_f64 v[184:185], v[172:173], s[6:7], v[184:185]
	v_fma_f64 v[198:199], v[172:173], s[4:5], -v[196:197]
	v_fma_f64 v[196:197], v[172:173], s[4:5], v[196:197]
	;; [unrolled: 2-line block ×4, first 2 shown]
	v_add_f64 v[124:125], v[124:125], v[140:141]
	v_add_f64 v[190:191], v[128:129], v[190:191]
	;; [unrolled: 1-line block ×13, first 2 shown]
	v_add_f64 v[168:169], v[178:179], -v[168:169]
	v_fma_f64 v[178:179], v[172:173], s[22:23], -v[176:177]
	v_fma_f64 v[176:177], v[172:173], s[22:23], v[176:177]
	v_mul_f64 v[180:181], v[168:169], s[24:25]
	v_mul_f64 v[192:193], v[168:169], s[8:9]
	;; [unrolled: 1-line block ×5, first 2 shown]
	v_add_f64 v[178:179], v[128:129], v[178:179]
	v_add_f64 v[176:177], v[128:129], v[176:177]
	;; [unrolled: 1-line block ×4, first 2 shown]
	v_add_f64 v[156:157], v[156:157], -v[166:167]
	v_fma_f64 v[182:183], v[174:175], s[22:23], v[180:181]
	v_fma_f64 v[180:181], v[174:175], s[22:23], -v[180:181]
	v_fma_f64 v[194:195], v[174:175], s[6:7], v[192:193]
	v_fma_f64 v[192:193], v[174:175], s[6:7], -v[192:193]
	;; [unrolled: 2-line block ×5, first 2 shown]
	v_add_f64 v[182:183], v[130:131], v[182:183]
	v_add_f64 v[180:181], v[130:131], v[180:181]
	;; [unrolled: 1-line block ×11, first 2 shown]
	v_add_f64 v[158:159], v[158:159], -v[164:165]
	v_mul_f64 v[164:165], v[156:157], s[8:9]
	v_mul_f64 v[172:173], v[158:159], s[8:9]
	v_fma_f64 v[166:167], v[168:169], s[6:7], -v[164:165]
	v_fma_f64 v[164:165], v[168:169], s[6:7], v[164:165]
	v_fma_f64 v[174:175], v[170:171], s[6:7], v[172:173]
	v_add_f64 v[166:167], v[166:167], v[178:179]
	v_add_f64 v[164:165], v[164:165], v[176:177]
	v_mul_f64 v[176:177], v[156:157], s[16:17]
	v_fma_f64 v[172:173], v[170:171], s[6:7], -v[172:173]
	v_add_f64 v[174:175], v[174:175], v[182:183]
	v_fma_f64 v[178:179], v[168:169], s[18:19], -v[176:177]
	v_fma_f64 v[176:177], v[168:169], s[18:19], v[176:177]
	v_add_f64 v[172:173], v[172:173], v[180:181]
	v_mul_f64 v[180:181], v[158:159], s[16:17]
	v_add_f64 v[178:179], v[178:179], v[190:191]
	v_add_f64 v[176:177], v[176:177], v[184:185]
	v_mul_f64 v[184:185], v[156:157], s[34:35]
	v_fma_f64 v[182:183], v[170:171], s[18:19], v[180:181]
	v_fma_f64 v[180:181], v[170:171], s[18:19], -v[180:181]
	v_fma_f64 v[190:191], v[168:169], s[30:31], -v[184:185]
	v_fma_f64 v[184:185], v[168:169], s[30:31], v[184:185]
	v_add_f64 v[180:181], v[180:181], v[192:193]
	v_mul_f64 v[192:193], v[158:159], s[34:35]
	v_add_f64 v[182:183], v[182:183], v[194:195]
	v_add_f64 v[190:191], v[190:191], v[198:199]
	;; [unrolled: 1-line block ×3, first 2 shown]
	v_mul_f64 v[196:197], v[156:157], s[14:15]
	v_fma_f64 v[194:195], v[170:171], s[30:31], v[192:193]
	v_fma_f64 v[192:193], v[170:171], s[30:31], -v[192:193]
	v_mul_f64 v[156:157], v[156:157], s[26:27]
	v_fma_f64 v[198:199], v[168:169], s[4:5], -v[196:197]
	v_fma_f64 v[196:197], v[168:169], s[4:5], v[196:197]
	v_add_f64 v[192:193], v[192:193], v[200:201]
	v_mul_f64 v[200:201], v[158:159], s[14:15]
	v_mul_f64 v[158:159], v[158:159], s[26:27]
	v_add_f64 v[194:195], v[194:195], v[202:203]
	v_add_f64 v[198:199], v[198:199], v[206:207]
	;; [unrolled: 1-line block ×3, first 2 shown]
	v_fma_f64 v[204:205], v[168:169], s[22:23], -v[156:157]
	v_fma_f64 v[156:157], v[168:169], s[22:23], v[156:157]
	v_fma_f64 v[206:207], v[170:171], s[22:23], v[158:159]
	;; [unrolled: 1-line block ×3, first 2 shown]
	v_fma_f64 v[200:201], v[170:171], s[4:5], -v[200:201]
	v_add_f64 v[204:205], v[204:205], v[212:213]
	v_add_f64 v[128:129], v[156:157], v[128:129]
	v_fma_f64 v[156:157], v[170:171], s[22:23], -v[158:159]
	v_add_f64 v[158:159], v[148:149], v[154:155]
	v_add_f64 v[148:149], v[148:149], -v[154:155]
	v_add_f64 v[200:201], v[200:201], v[208:209]
	v_add_f64 v[202:203], v[202:203], v[210:211]
	;; [unrolled: 1-line block ×5, first 2 shown]
	v_mul_f64 v[154:155], v[148:149], s[2:3]
	v_add_f64 v[152:153], v[152:153], -v[160:161]
	v_fma_f64 v[160:161], v[156:157], s[4:5], -v[154:155]
	v_fma_f64 v[154:155], v[156:157], s[4:5], v[154:155]
	v_add_f64 v[160:161], v[160:161], v[166:167]
	v_mul_f64 v[166:167], v[152:153], s[2:3]
	v_add_f64 v[154:155], v[154:155], v[164:165]
	v_fma_f64 v[168:169], v[158:159], s[4:5], v[166:167]
	v_fma_f64 v[164:165], v[158:159], s[4:5], -v[166:167]
	v_mul_f64 v[166:167], v[148:149], s[34:35]
	v_add_f64 v[168:169], v[168:169], v[174:175]
	v_add_f64 v[164:165], v[164:165], v[172:173]
	v_fma_f64 v[170:171], v[156:157], s[30:31], -v[166:167]
	v_mul_f64 v[172:173], v[152:153], s[34:35]
	v_fma_f64 v[166:167], v[156:157], s[30:31], v[166:167]
	v_add_f64 v[170:171], v[170:171], v[178:179]
	v_fma_f64 v[174:175], v[158:159], s[30:31], v[172:173]
	v_add_f64 v[166:167], v[166:167], v[176:177]
	v_fma_f64 v[172:173], v[158:159], s[30:31], -v[172:173]
	v_mul_f64 v[176:177], v[148:149], s[20:21]
	v_add_f64 v[174:175], v[174:175], v[182:183]
	v_add_f64 v[172:173], v[172:173], v[180:181]
	v_fma_f64 v[178:179], v[156:157], s[6:7], -v[176:177]
	v_mul_f64 v[180:181], v[152:153], s[20:21]
	v_fma_f64 v[176:177], v[156:157], s[6:7], v[176:177]
	v_add_f64 v[178:179], v[178:179], v[190:191]
	v_fma_f64 v[182:183], v[158:159], s[6:7], v[180:181]
	v_add_f64 v[176:177], v[176:177], v[184:185]
	v_fma_f64 v[180:181], v[158:159], s[6:7], -v[180:181]
	v_mul_f64 v[184:185], v[148:149], s[24:25]
	v_mul_f64 v[148:149], v[148:149], s[16:17]
	v_add_f64 v[182:183], v[182:183], v[194:195]
	v_add_f64 v[180:181], v[180:181], v[192:193]
	v_fma_f64 v[190:191], v[156:157], s[22:23], -v[184:185]
	v_mul_f64 v[192:193], v[152:153], s[24:25]
	v_fma_f64 v[184:185], v[156:157], s[22:23], v[184:185]
	v_mul_f64 v[152:153], v[152:153], s[16:17]
	v_add_f64 v[190:191], v[190:191], v[198:199]
	v_fma_f64 v[194:195], v[158:159], s[22:23], v[192:193]
	v_add_f64 v[184:185], v[184:185], v[196:197]
	v_fma_f64 v[192:193], v[158:159], s[22:23], -v[192:193]
	v_fma_f64 v[196:197], v[156:157], s[18:19], -v[148:149]
	v_fma_f64 v[148:149], v[156:157], s[18:19], v[148:149]
	v_fma_f64 v[198:199], v[158:159], s[18:19], v[152:153]
	v_add_f64 v[194:195], v[194:195], v[202:203]
	v_add_f64 v[192:193], v[192:193], v[200:201]
	;; [unrolled: 1-line block ×4, first 2 shown]
	v_fma_f64 v[148:149], v[158:159], s[18:19], -v[152:153]
	v_add_f64 v[138:139], v[138:139], -v[146:147]
	v_add_f64 v[196:197], v[196:197], v[204:205]
	v_add_f64 v[198:199], v[198:199], v[206:207]
	;; [unrolled: 1-line block ×4, first 2 shown]
	v_mul_f64 v[146:147], v[138:139], s[16:17]
	v_add_f64 v[144:145], v[144:145], -v[150:151]
	v_fma_f64 v[150:151], v[148:149], s[18:19], -v[146:147]
	v_fma_f64 v[146:147], v[148:149], s[18:19], v[146:147]
	v_add_f64 v[202:203], v[150:151], v[160:161]
	v_mul_f64 v[150:151], v[144:145], s[16:17]
	v_add_f64 v[204:205], v[146:147], v[154:155]
	v_fma_f64 v[146:147], v[200:201], s[18:19], -v[150:151]
	v_fma_f64 v[152:153], v[200:201], s[18:19], v[150:151]
	v_add_f64 v[164:165], v[146:147], v[164:165]
	v_mul_f64 v[146:147], v[138:139], s[14:15]
	v_add_f64 v[168:169], v[152:153], v[168:169]
	;; [unrolled: 5-line block ×5, first 2 shown]
	v_fma_f64 v[146:147], v[200:201], s[22:23], -v[150:151]
	v_fma_f64 v[152:153], v[200:201], s[22:23], v[150:151]
	v_add_f64 v[180:181], v[146:147], v[180:181]
	v_mul_f64 v[146:147], v[138:139], s[28:29]
	v_mul_f64 v[138:139], v[138:139], s[20:21]
	v_add_f64 v[182:183], v[152:153], v[182:183]
	v_fma_f64 v[150:151], v[148:149], s[30:31], -v[146:147]
	v_fma_f64 v[146:147], v[148:149], s[30:31], v[146:147]
	v_add_f64 v[160:161], v[150:151], v[190:191]
	v_mul_f64 v[150:151], v[144:145], s[28:29]
	v_add_f64 v[156:157], v[146:147], v[184:185]
	v_mul_f64 v[144:145], v[144:145], s[20:21]
	v_fma_f64 v[146:147], v[200:201], s[30:31], -v[150:151]
	v_fma_f64 v[152:153], v[200:201], s[30:31], v[150:151]
	v_add_f64 v[154:155], v[146:147], v[192:193]
	v_fma_f64 v[146:147], v[148:149], s[6:7], -v[138:139]
	v_add_f64 v[158:159], v[152:153], v[194:195]
	v_fma_f64 v[138:139], v[148:149], s[6:7], v[138:139]
	v_add_f64 v[148:149], v[140:141], v[142:143]
	v_add_f64 v[140:141], v[140:141], -v[142:143]
	v_add_f64 v[142:143], v[132:133], -v[134:135]
	v_add_f64 v[152:153], v[146:147], v[196:197]
	v_fma_f64 v[146:147], v[200:201], s[6:7], v[144:145]
	v_mul_f64 v[184:185], v[142:143], s[16:17]
	v_add_f64 v[150:151], v[146:147], v[198:199]
	v_add_f64 v[146:147], v[138:139], v[128:129]
	v_fma_f64 v[128:129], v[200:201], s[6:7], -v[144:145]
	v_add_f64 v[144:145], v[132:133], v[134:135]
	v_mul_f64 v[134:135], v[140:141], s[28:29]
	v_mul_f64 v[132:133], v[142:143], s[28:29]
	v_add_f64 v[138:139], v[128:129], v[130:131]
	v_fma_f64 v[130:131], v[144:145], s[30:31], v[134:135]
	v_fma_f64 v[134:135], v[144:145], s[30:31], -v[134:135]
	v_fma_f64 v[128:129], v[148:149], s[30:31], -v[132:133]
	v_fma_f64 v[132:133], v[148:149], s[30:31], v[132:133]
	v_add_f64 v[130:131], v[130:131], v[168:169]
	v_mul_f64 v[168:169], v[142:143], s[26:27]
	v_add_f64 v[134:135], v[134:135], v[164:165]
	v_add_f64 v[128:129], v[128:129], v[202:203]
	;; [unrolled: 1-line block ×3, first 2 shown]
	v_fma_f64 v[164:165], v[148:149], s[22:23], -v[168:169]
	v_fma_f64 v[168:169], v[148:149], s[22:23], v[168:169]
	v_add_f64 v[164:165], v[164:165], v[170:171]
	v_mul_f64 v[170:171], v[140:141], s[26:27]
	v_add_f64 v[168:169], v[168:169], v[206:207]
	v_fma_f64 v[166:167], v[144:145], s[22:23], v[170:171]
	v_fma_f64 v[170:171], v[144:145], s[22:23], -v[170:171]
	v_add_f64 v[166:167], v[166:167], v[174:175]
	v_add_f64 v[170:171], v[170:171], v[172:173]
	v_fma_f64 v[172:173], v[148:149], s[18:19], -v[184:185]
	v_add_f64 v[172:173], v[172:173], v[178:179]
	v_mul_f64 v[178:179], v[140:141], s[16:17]
	v_fma_f64 v[174:175], v[144:145], s[18:19], v[178:179]
	v_fma_f64 v[178:179], v[144:145], s[18:19], -v[178:179]
	v_add_f64 v[174:175], v[174:175], v[182:183]
	v_fma_f64 v[182:183], v[148:149], s[18:19], v[184:185]
	v_mul_f64 v[184:185], v[142:143], s[20:21]
	v_add_f64 v[178:179], v[178:179], v[180:181]
	v_mul_f64 v[142:143], v[142:143], s[2:3]
	v_add_f64 v[176:177], v[182:183], v[176:177]
	v_fma_f64 v[180:181], v[148:149], s[6:7], -v[184:185]
	v_add_f64 v[180:181], v[180:181], v[160:161]
	v_mul_f64 v[160:161], v[140:141], s[20:21]
	v_fma_f64 v[182:183], v[144:145], s[6:7], v[160:161]
	v_add_f64 v[182:183], v[182:183], v[158:159]
	v_fma_f64 v[158:159], v[148:149], s[6:7], v[184:185]
	v_add_f64 v[156:157], v[158:159], v[156:157]
	v_fma_f64 v[158:159], v[144:145], s[6:7], -v[160:161]
	v_mul_f64 v[160:161], v[140:141], s[2:3]
	v_add_f64 v[158:159], v[158:159], v[154:155]
	v_fma_f64 v[154:155], v[148:149], s[4:5], -v[142:143]
	v_fma_f64 v[140:141], v[144:145], s[4:5], v[160:161]
	v_add_f64 v[152:153], v[154:155], v[152:153]
	v_add_f64 v[154:155], v[140:141], v[150:151]
	v_fma_f64 v[140:141], v[148:149], s[4:5], v[142:143]
	v_fma_f64 v[142:143], v[144:145], s[4:5], -v[160:161]
	v_add_f64 v[140:141], v[140:141], v[146:147]
	v_add_f64 v[142:143], v[142:143], v[138:139]
	v_add_co_u32 v138, vcc_lo, 0x5330, v162
	v_add_co_ci_u32_e32 v139, vcc_lo, 0, v163, vcc_lo
	ds_write_b128 v186, v[124:127]
	ds_write_b128 v186, v[128:131] offset:1936
	ds_write_b128 v186, v[164:167] offset:3872
	ds_write_b128 v186, v[172:175] offset:5808
	ds_write_b128 v186, v[180:183] offset:7744
	ds_write_b128 v186, v[152:155] offset:9680
	ds_write_b128 v186, v[140:143] offset:11616
	ds_write_b128 v186, v[156:159] offset:13552
	ds_write_b128 v186, v[176:179] offset:15488
	ds_write_b128 v186, v[168:171] offset:17424
	ds_write_b128 v186, v[132:135] offset:19360
	v_add_co_u32 v128, vcc_lo, 0x5000, v162
	v_add_co_ci_u32_e32 v129, vcc_lo, 0, v163, vcc_lo
	s_waitcnt lgkmcnt(0)
	s_barrier
	buffer_gl0_inv
	global_load_dwordx4 v[128:131], v[128:129], off offset:816
	ds_read_b128 v[124:127], v186
	s_waitcnt vmcnt(0) lgkmcnt(0)
	v_mul_f64 v[132:133], v[126:127], v[130:131]
	v_fma_f64 v[132:133], v[124:125], v[128:129], -v[132:133]
	v_mul_f64 v[124:125], v[124:125], v[130:131]
	v_fma_f64 v[134:135], v[126:127], v[128:129], v[124:125]
	global_load_dwordx4 v[128:131], v[138:139], off offset:1936
	ds_read_b128 v[124:127], v186 offset:1936
	ds_write_b128 v186, v[132:135]
	s_waitcnt vmcnt(0) lgkmcnt(1)
	v_mul_f64 v[132:133], v[126:127], v[130:131]
	v_fma_f64 v[132:133], v[124:125], v[128:129], -v[132:133]
	v_mul_f64 v[124:125], v[124:125], v[130:131]
	v_fma_f64 v[134:135], v[126:127], v[128:129], v[124:125]
	v_add_co_u32 v128, vcc_lo, 0x6000, v162
	v_add_co_ci_u32_e32 v129, vcc_lo, 0, v163, vcc_lo
	ds_read_b128 v[124:127], v186 offset:3872
	global_load_dwordx4 v[128:131], v[128:129], off offset:592
	ds_write_b128 v186, v[132:135] offset:1936
	s_waitcnt vmcnt(0) lgkmcnt(1)
	v_mul_f64 v[132:133], v[126:127], v[130:131]
	v_fma_f64 v[132:133], v[124:125], v[128:129], -v[132:133]
	v_mul_f64 v[124:125], v[124:125], v[130:131]
	v_fma_f64 v[134:135], v[126:127], v[128:129], v[124:125]
	v_add_co_u32 v128, vcc_lo, 0x6800, v162
	v_add_co_ci_u32_e32 v129, vcc_lo, 0, v163, vcc_lo
	ds_read_b128 v[124:127], v186 offset:5808
	global_load_dwordx4 v[128:131], v[128:129], off offset:480
	ds_write_b128 v186, v[132:135] offset:3872
	;; [unrolled: 10-line block ×4, first 2 shown]
	s_waitcnt vmcnt(0) lgkmcnt(1)
	v_mul_f64 v[132:133], v[126:127], v[130:131]
	v_fma_f64 v[132:133], v[124:125], v[128:129], -v[132:133]
	v_mul_f64 v[124:125], v[124:125], v[130:131]
	v_fma_f64 v[134:135], v[126:127], v[128:129], v[124:125]
	v_add_co_u32 v128, vcc_lo, 0x8000, v162
	v_add_co_ci_u32_e32 v129, vcc_lo, 0, v163, vcc_lo
	ds_read_b128 v[124:127], v186 offset:11616
	v_add_co_u32 v138, vcc_lo, 0x8800, v162
	global_load_dwordx4 v[128:131], v[128:129], off offset:144
	v_add_co_ci_u32_e32 v139, vcc_lo, 0, v163, vcc_lo
	ds_write_b128 v186, v[132:135] offset:9680
	s_waitcnt vmcnt(0) lgkmcnt(1)
	v_mul_f64 v[132:133], v[126:127], v[130:131]
	v_fma_f64 v[132:133], v[124:125], v[128:129], -v[132:133]
	v_mul_f64 v[124:125], v[124:125], v[130:131]
	v_fma_f64 v[134:135], v[126:127], v[128:129], v[124:125]
	global_load_dwordx4 v[128:131], v[138:139], off offset:32
	ds_read_b128 v[124:127], v186 offset:13552
	ds_write_b128 v186, v[132:135] offset:11616
	s_waitcnt vmcnt(0) lgkmcnt(1)
	v_mul_f64 v[132:133], v[126:127], v[130:131]
	v_fma_f64 v[132:133], v[124:125], v[128:129], -v[132:133]
	v_mul_f64 v[124:125], v[124:125], v[130:131]
	v_fma_f64 v[134:135], v[126:127], v[128:129], v[124:125]
	global_load_dwordx4 v[128:131], v[138:139], off offset:1968
	ds_read_b128 v[124:127], v186 offset:15488
	ds_write_b128 v186, v[132:135] offset:13552
	s_waitcnt vmcnt(0) lgkmcnt(1)
	v_mul_f64 v[132:133], v[126:127], v[130:131]
	v_fma_f64 v[132:133], v[124:125], v[128:129], -v[132:133]
	v_mul_f64 v[124:125], v[124:125], v[130:131]
	v_fma_f64 v[134:135], v[126:127], v[128:129], v[124:125]
	v_add_co_u32 v128, vcc_lo, 0x9000, v162
	v_add_co_ci_u32_e32 v129, vcc_lo, 0, v163, vcc_lo
	ds_read_b128 v[124:127], v186 offset:17424
	global_load_dwordx4 v[128:131], v[128:129], off offset:1856
	ds_write_b128 v186, v[132:135] offset:15488
	s_waitcnt vmcnt(0) lgkmcnt(1)
	v_mul_f64 v[132:133], v[126:127], v[130:131]
	v_fma_f64 v[132:133], v[124:125], v[128:129], -v[132:133]
	v_mul_f64 v[124:125], v[124:125], v[130:131]
	v_fma_f64 v[134:135], v[126:127], v[128:129], v[124:125]
	v_add_co_u32 v128, vcc_lo, 0x9800, v162
	v_add_co_ci_u32_e32 v129, vcc_lo, 0, v163, vcc_lo
	ds_read_b128 v[124:127], v186 offset:19360
	global_load_dwordx4 v[128:131], v[128:129], off offset:1744
	ds_write_b128 v186, v[132:135] offset:17424
	s_waitcnt vmcnt(0) lgkmcnt(1)
	v_mul_f64 v[132:133], v[126:127], v[130:131]
	v_fma_f64 v[132:133], v[124:125], v[128:129], -v[132:133]
	v_mul_f64 v[124:125], v[124:125], v[130:131]
	v_fma_f64 v[134:135], v[126:127], v[128:129], v[124:125]
	ds_write_b128 v186, v[132:135] offset:19360
	s_waitcnt lgkmcnt(0)
	s_barrier
	buffer_gl0_inv
	ds_read_b128 v[138:141], v186
	ds_read_b128 v[142:145], v186 offset:1936
	ds_read_b128 v[146:149], v186 offset:3872
	;; [unrolled: 1-line block ×10, first 2 shown]
	s_waitcnt lgkmcnt(0)
	s_barrier
	buffer_gl0_inv
	v_add_f64 v[124:125], v[138:139], v[142:143]
	v_add_f64 v[126:127], v[140:141], v[144:145]
	;; [unrolled: 1-line block ×3, first 2 shown]
	v_add_f64 v[144:145], v[144:145], -v[172:173]
	v_add_f64 v[174:175], v[142:143], v[170:171]
	v_add_f64 v[142:143], v[142:143], -v[170:171]
	v_add_f64 v[124:125], v[124:125], v[146:147]
	v_add_f64 v[126:127], v[126:127], v[148:149]
	v_mul_f64 v[178:179], v[176:177], s[22:23]
	v_mul_f64 v[182:183], v[144:145], s[8:9]
	;; [unrolled: 1-line block ×8, first 2 shown]
	v_add_f64 v[124:125], v[124:125], v[150:151]
	v_add_f64 v[126:127], v[126:127], v[152:153]
	v_fma_f64 v[180:181], v[142:143], s[26:27], v[178:179]
	v_fma_f64 v[184:185], v[174:175], s[6:7], v[182:183]
	v_fma_f64 v[182:183], v[174:175], s[6:7], -v[182:183]
	v_fma_f64 v[196:197], v[174:175], s[4:5], v[194:195]
	v_fma_f64 v[194:195], v[174:175], s[4:5], -v[194:195]
	;; [unrolled: 2-line block ×3, first 2 shown]
	v_fma_f64 v[178:179], v[142:143], s[24:25], v[178:179]
	v_fma_f64 v[192:193], v[142:143], s[20:21], v[190:191]
	v_fma_f64 v[190:191], v[142:143], s[8:9], v[190:191]
	v_fma_f64 v[200:201], v[142:143], s[14:15], v[198:199]
	v_fma_f64 v[198:199], v[142:143], s[2:3], v[198:199]
	v_fma_f64 v[208:209], v[142:143], s[10:11], v[206:207]
	v_add_f64 v[124:125], v[124:125], v[154:155]
	v_add_f64 v[126:127], v[126:127], v[156:157]
	v_fma_f64 v[206:207], v[142:143], s[16:17], v[206:207]
	v_fma_f64 v[212:213], v[142:143], s[34:35], v[176:177]
	;; [unrolled: 1-line block ×3, first 2 shown]
	v_add_f64 v[180:181], v[140:141], v[180:181]
	v_add_f64 v[184:185], v[138:139], v[184:185]
	;; [unrolled: 1-line block ×19, first 2 shown]
	v_add_f64 v[146:147], v[146:147], -v[166:167]
	v_add_f64 v[124:125], v[124:125], v[132:133]
	v_add_f64 v[126:127], v[126:127], v[134:135]
	;; [unrolled: 1-line block ×9, first 2 shown]
	v_mul_f64 v[170:171], v[144:145], s[24:25]
	v_mul_f64 v[144:145], v[144:145], s[28:29]
	v_add_f64 v[126:127], v[126:127], v[172:173]
	v_fma_f64 v[172:173], v[174:175], s[22:23], v[170:171]
	v_fma_f64 v[170:171], v[174:175], s[22:23], -v[170:171]
	v_fma_f64 v[210:211], v[174:175], s[30:31], v[144:145]
	v_fma_f64 v[144:145], v[174:175], s[30:31], -v[144:145]
	v_add_f64 v[172:173], v[138:139], v[172:173]
	v_add_f64 v[170:171], v[138:139], v[170:171]
	v_add_f64 v[210:211], v[138:139], v[210:211]
	v_add_f64 v[138:139], v[138:139], v[144:145]
	v_add_f64 v[144:145], v[148:149], v[168:169]
	v_add_f64 v[148:149], v[148:149], -v[168:169]
	v_mul_f64 v[166:167], v[148:149], s[8:9]
	v_fma_f64 v[168:169], v[142:143], s[6:7], v[166:167]
	v_fma_f64 v[166:167], v[142:143], s[6:7], -v[166:167]
	v_add_f64 v[168:169], v[168:169], v[172:173]
	v_mul_f64 v[172:173], v[144:145], s[6:7]
	v_add_f64 v[166:167], v[166:167], v[170:171]
	v_fma_f64 v[174:175], v[146:147], s[20:21], v[172:173]
	v_fma_f64 v[170:171], v[146:147], s[8:9], v[172:173]
	v_mul_f64 v[172:173], v[148:149], s[16:17]
	v_add_f64 v[174:175], v[174:175], v[180:181]
	v_add_f64 v[170:171], v[170:171], v[178:179]
	v_fma_f64 v[176:177], v[142:143], s[18:19], v[172:173]
	v_fma_f64 v[172:173], v[142:143], s[18:19], -v[172:173]
	v_mul_f64 v[178:179], v[144:145], s[18:19]
	v_add_f64 v[176:177], v[176:177], v[184:185]
	v_add_f64 v[172:173], v[172:173], v[182:183]
	v_mul_f64 v[182:183], v[148:149], s[34:35]
	v_fma_f64 v[180:181], v[146:147], s[10:11], v[178:179]
	v_fma_f64 v[178:179], v[146:147], s[16:17], v[178:179]
	;; [unrolled: 1-line block ×3, first 2 shown]
	v_fma_f64 v[182:183], v[142:143], s[30:31], -v[182:183]
	v_add_f64 v[178:179], v[178:179], v[190:191]
	v_mul_f64 v[190:191], v[144:145], s[30:31]
	v_add_f64 v[180:181], v[180:181], v[192:193]
	v_add_f64 v[184:185], v[184:185], v[196:197]
	;; [unrolled: 1-line block ×3, first 2 shown]
	v_mul_f64 v[194:195], v[148:149], s[14:15]
	v_fma_f64 v[192:193], v[146:147], s[28:29], v[190:191]
	v_fma_f64 v[190:191], v[146:147], s[34:35], v[190:191]
	v_mul_f64 v[148:149], v[148:149], s[26:27]
	v_fma_f64 v[196:197], v[142:143], s[4:5], v[194:195]
	v_fma_f64 v[194:195], v[142:143], s[4:5], -v[194:195]
	v_add_f64 v[190:191], v[190:191], v[198:199]
	v_mul_f64 v[198:199], v[144:145], s[4:5]
	v_mul_f64 v[144:145], v[144:145], s[22:23]
	v_add_f64 v[192:193], v[192:193], v[200:201]
	v_add_f64 v[196:197], v[196:197], v[204:205]
	;; [unrolled: 1-line block ×3, first 2 shown]
	v_fma_f64 v[202:203], v[142:143], s[22:23], v[148:149]
	v_fma_f64 v[142:143], v[142:143], s[22:23], -v[148:149]
	v_add_f64 v[148:149], v[152:153], -v[164:165]
	v_fma_f64 v[200:201], v[146:147], s[2:3], v[198:199]
	v_fma_f64 v[198:199], v[146:147], s[14:15], v[198:199]
	;; [unrolled: 1-line block ×3, first 2 shown]
	v_add_f64 v[202:203], v[202:203], v[210:211]
	v_add_f64 v[138:139], v[142:143], v[138:139]
	v_fma_f64 v[142:143], v[146:147], s[26:27], v[144:145]
	v_add_f64 v[144:145], v[152:153], v[164:165]
	v_add_f64 v[146:147], v[150:151], -v[162:163]
	v_add_f64 v[198:199], v[198:199], v[206:207]
	v_add_f64 v[200:201], v[200:201], v[208:209]
	v_add_f64 v[210:211], v[154:155], -v[158:159]
	v_add_f64 v[204:205], v[204:205], v[212:213]
	v_add_f64 v[140:141], v[142:143], v[140:141]
	;; [unrolled: 1-line block ×3, first 2 shown]
	v_mul_f64 v[150:151], v[148:149], s[2:3]
	v_mul_f64 v[162:163], v[144:145], s[4:5]
	v_fma_f64 v[152:153], v[142:143], s[4:5], v[150:151]
	v_fma_f64 v[150:151], v[142:143], s[4:5], -v[150:151]
	v_fma_f64 v[164:165], v[146:147], s[14:15], v[162:163]
	v_fma_f64 v[162:163], v[146:147], s[2:3], v[162:163]
	v_add_f64 v[152:153], v[152:153], v[168:169]
	v_add_f64 v[150:151], v[150:151], v[166:167]
	v_mul_f64 v[166:167], v[148:149], s[34:35]
	v_add_f64 v[162:163], v[162:163], v[170:171]
	v_mul_f64 v[170:171], v[144:145], s[30:31]
	v_add_f64 v[164:165], v[164:165], v[174:175]
	v_fma_f64 v[168:169], v[142:143], s[30:31], v[166:167]
	v_fma_f64 v[166:167], v[142:143], s[30:31], -v[166:167]
	v_fma_f64 v[174:175], v[146:147], s[28:29], v[170:171]
	v_add_f64 v[168:169], v[168:169], v[176:177]
	v_add_f64 v[206:207], v[166:167], v[172:173]
	v_fma_f64 v[166:167], v[146:147], s[34:35], v[170:171]
	v_add_f64 v[180:181], v[174:175], v[180:181]
	v_add_f64 v[178:179], v[166:167], v[178:179]
	v_mul_f64 v[166:167], v[148:149], s[20:21]
	v_fma_f64 v[170:171], v[142:143], s[6:7], v[166:167]
	v_fma_f64 v[166:167], v[142:143], s[6:7], -v[166:167]
	v_add_f64 v[184:185], v[170:171], v[184:185]
	v_mul_f64 v[170:171], v[144:145], s[6:7]
	v_add_f64 v[182:183], v[166:167], v[182:183]
	v_fma_f64 v[166:167], v[146:147], s[20:21], v[170:171]
	v_fma_f64 v[172:173], v[146:147], s[8:9], v[170:171]
	v_add_f64 v[190:191], v[166:167], v[190:191]
	v_mul_f64 v[166:167], v[148:149], s[24:25]
	v_mul_f64 v[148:149], v[148:149], s[16:17]
	v_add_f64 v[192:193], v[172:173], v[192:193]
	v_fma_f64 v[170:171], v[142:143], s[22:23], v[166:167]
	v_fma_f64 v[166:167], v[142:143], s[22:23], -v[166:167]
	v_add_f64 v[196:197], v[170:171], v[196:197]
	v_mul_f64 v[170:171], v[144:145], s[22:23]
	v_add_f64 v[194:195], v[166:167], v[194:195]
	v_mul_f64 v[144:145], v[144:145], s[18:19]
	v_fma_f64 v[166:167], v[146:147], s[24:25], v[170:171]
	v_fma_f64 v[172:173], v[146:147], s[26:27], v[170:171]
	v_add_f64 v[198:199], v[166:167], v[198:199]
	v_fma_f64 v[166:167], v[142:143], s[18:19], v[148:149]
	v_fma_f64 v[142:143], v[142:143], s[18:19], -v[148:149]
	v_add_f64 v[200:201], v[172:173], v[200:201]
	v_add_f64 v[202:203], v[166:167], v[202:203]
	v_fma_f64 v[166:167], v[146:147], s[10:11], v[144:145]
	v_add_f64 v[138:139], v[142:143], v[138:139]
	v_fma_f64 v[142:143], v[146:147], s[16:17], v[144:145]
	v_add_f64 v[144:145], v[156:157], -v[160:161]
	v_add_f64 v[204:205], v[166:167], v[204:205]
	v_add_f64 v[208:209], v[142:143], v[140:141]
	;; [unrolled: 1-line block ×3, first 2 shown]
	v_mul_f64 v[146:147], v[144:145], s[16:17]
	v_add_f64 v[142:143], v[156:157], v[160:161]
	v_fma_f64 v[148:149], v[140:141], s[18:19], v[146:147]
	v_fma_f64 v[146:147], v[140:141], s[18:19], -v[146:147]
	v_add_f64 v[176:177], v[148:149], v[152:153]
	v_mul_f64 v[148:149], v[142:143], s[18:19]
	v_add_f64 v[172:173], v[146:147], v[150:151]
	v_fma_f64 v[146:147], v[210:211], s[16:17], v[148:149]
	v_fma_f64 v[152:153], v[210:211], s[10:11], v[148:149]
	v_add_f64 v[174:175], v[146:147], v[162:163]
	v_mul_f64 v[146:147], v[144:145], s[14:15]
	v_add_f64 v[170:171], v[152:153], v[164:165]
	v_fma_f64 v[148:149], v[140:141], s[4:5], v[146:147]
	v_fma_f64 v[146:147], v[140:141], s[4:5], -v[146:147]
	v_add_f64 v[168:169], v[148:149], v[168:169]
	v_mul_f64 v[148:149], v[142:143], s[4:5]
	v_add_f64 v[164:165], v[146:147], v[206:207]
	v_fma_f64 v[146:147], v[210:211], s[14:15], v[148:149]
	v_fma_f64 v[150:151], v[210:211], s[2:3], v[148:149]
	v_add_f64 v[162:163], v[146:147], v[178:179]
	v_mul_f64 v[146:147], v[144:145], s[24:25]
	v_add_f64 v[166:167], v[150:151], v[180:181]
	v_mul_f64 v[178:179], v[142:143], s[30:31]
	v_mul_f64 v[180:181], v[142:143], s[6:7]
	v_fma_f64 v[148:149], v[140:141], s[22:23], v[146:147]
	v_fma_f64 v[146:147], v[140:141], s[22:23], -v[146:147]
	v_add_f64 v[160:161], v[148:149], v[184:185]
	v_mul_f64 v[148:149], v[142:143], s[22:23]
	v_add_f64 v[156:157], v[146:147], v[182:183]
	v_add_f64 v[184:185], v[130:131], -v[134:135]
	v_fma_f64 v[142:143], v[210:211], s[8:9], v[180:181]
	v_add_f64 v[182:183], v[130:131], v[134:135]
	v_fma_f64 v[146:147], v[210:211], s[24:25], v[148:149]
	v_fma_f64 v[150:151], v[210:211], s[26:27], v[148:149]
	v_add_f64 v[142:143], v[142:143], v[204:205]
	v_add_f64 v[154:155], v[146:147], v[190:191]
	v_mul_f64 v[146:147], v[144:145], s[28:29]
	v_add_f64 v[158:159], v[150:151], v[192:193]
	v_fma_f64 v[148:149], v[140:141], s[30:31], v[146:147]
	v_fma_f64 v[146:147], v[140:141], s[30:31], -v[146:147]
	v_add_f64 v[152:153], v[148:149], v[196:197]
	v_fma_f64 v[148:149], v[210:211], s[34:35], v[178:179]
	v_add_f64 v[150:151], v[148:149], v[200:201]
	v_add_f64 v[148:149], v[146:147], v[194:195]
	v_fma_f64 v[146:147], v[210:211], s[28:29], v[178:179]
	v_mul_f64 v[178:179], v[144:145], s[20:21]
	v_add_f64 v[146:147], v[146:147], v[198:199]
	v_fma_f64 v[144:145], v[140:141], s[6:7], v[178:179]
	v_fma_f64 v[140:141], v[140:141], s[6:7], -v[178:179]
	v_add_f64 v[178:179], v[128:129], -v[132:133]
	v_add_f64 v[144:145], v[144:145], v[202:203]
	v_add_f64 v[140:141], v[140:141], v[138:139]
	v_fma_f64 v[138:139], v[210:211], s[20:21], v[180:181]
	v_add_f64 v[180:181], v[128:129], v[132:133]
	v_mul_f64 v[128:129], v[184:185], s[28:29]
	v_add_f64 v[138:139], v[138:139], v[208:209]
	v_fma_f64 v[130:131], v[180:181], s[30:31], v[128:129]
	v_fma_f64 v[128:129], v[180:181], s[30:31], -v[128:129]
	v_add_f64 v[132:133], v[130:131], v[176:177]
	v_mul_f64 v[130:131], v[182:183], s[30:31]
	v_add_f64 v[128:129], v[128:129], v[172:173]
	v_mul_f64 v[172:173], v[184:185], s[26:27]
	v_fma_f64 v[134:135], v[178:179], s[34:35], v[130:131]
	v_fma_f64 v[130:131], v[178:179], s[28:29], v[130:131]
	v_add_f64 v[134:135], v[134:135], v[170:171]
	v_add_f64 v[130:131], v[130:131], v[174:175]
	v_fma_f64 v[170:171], v[180:181], s[22:23], v[172:173]
	v_mul_f64 v[174:175], v[182:183], s[22:23]
	v_add_f64 v[168:169], v[170:171], v[168:169]
	v_fma_f64 v[170:171], v[178:179], s[24:25], v[174:175]
	v_add_f64 v[170:171], v[170:171], v[166:167]
	v_fma_f64 v[166:167], v[180:181], s[22:23], -v[172:173]
	v_mul_f64 v[172:173], v[184:185], s[16:17]
	v_add_f64 v[164:165], v[166:167], v[164:165]
	v_fma_f64 v[166:167], v[178:179], s[26:27], v[174:175]
	v_mul_f64 v[174:175], v[182:183], s[18:19]
	v_add_f64 v[166:167], v[166:167], v[162:163]
	v_fma_f64 v[162:163], v[180:181], s[18:19], v[172:173]
	v_add_f64 v[160:161], v[162:163], v[160:161]
	v_fma_f64 v[162:163], v[178:179], s[10:11], v[174:175]
	v_add_f64 v[162:163], v[162:163], v[158:159]
	v_fma_f64 v[158:159], v[180:181], s[18:19], -v[172:173]
	v_mul_f64 v[172:173], v[184:185], s[20:21]
	v_add_f64 v[156:157], v[158:159], v[156:157]
	v_fma_f64 v[158:159], v[178:179], s[16:17], v[174:175]
	v_mul_f64 v[174:175], v[182:183], s[6:7]
	v_add_f64 v[158:159], v[158:159], v[154:155]
	v_fma_f64 v[154:155], v[180:181], s[6:7], v[172:173]
	;; [unrolled: 10-line block ×3, first 2 shown]
	v_add_f64 v[144:145], v[146:147], v[144:145]
	v_fma_f64 v[146:147], v[178:179], s[14:15], v[174:175]
	v_add_f64 v[146:147], v[146:147], v[142:143]
	v_fma_f64 v[142:143], v[180:181], s[4:5], -v[172:173]
	v_add_f64 v[140:141], v[142:143], v[140:141]
	v_fma_f64 v[142:143], v[178:179], s[2:3], v[174:175]
	v_add_f64 v[142:143], v[142:143], v[138:139]
	ds_write_b128 v188, v[124:127]
	ds_write_b128 v188, v[132:135] offset:16
	ds_write_b128 v188, v[168:171] offset:32
	;; [unrolled: 1-line block ×10, first 2 shown]
	s_waitcnt lgkmcnt(0)
	s_barrier
	buffer_gl0_inv
	ds_read_b128 v[124:127], v186
	ds_read_b128 v[128:131], v186 offset:1936
	ds_read_b128 v[138:141], v186 offset:3872
	;; [unrolled: 1-line block ×10, first 2 shown]
	s_waitcnt lgkmcnt(0)
	s_barrier
	buffer_gl0_inv
	v_mul_f64 v[132:133], v[78:79], v[130:131]
	v_mul_f64 v[78:79], v[78:79], v[128:129]
	v_fma_f64 v[174:175], v[76:77], v[128:129], v[132:133]
	v_fma_f64 v[176:177], v[76:77], v[130:131], -v[78:79]
	v_mul_f64 v[76:77], v[54:55], v[140:141]
	v_mul_f64 v[54:55], v[54:55], v[138:139]
	v_fma_f64 v[134:135], v[52:53], v[138:139], v[76:77]
	v_fma_f64 v[132:133], v[52:53], v[140:141], -v[54:55]
	v_mul_f64 v[52:53], v[50:51], v[144:145]
	v_mul_f64 v[50:51], v[50:51], v[142:143]
	v_fma_f64 v[130:131], v[48:49], v[142:143], v[52:53]
	v_fma_f64 v[128:129], v[48:49], v[144:145], -v[50:51]
	v_mul_f64 v[48:49], v[46:47], v[148:149]
	v_mul_f64 v[46:47], v[46:47], v[146:147]
	v_fma_f64 v[78:79], v[44:45], v[146:147], v[48:49]
	v_fma_f64 v[76:77], v[44:45], v[148:149], -v[46:47]
	v_mul_f64 v[44:45], v[74:75], v[152:153]
	v_add_f64 v[46:47], v[126:127], v[176:177]
	v_fma_f64 v[52:53], v[72:73], v[150:151], v[44:45]
	v_mul_f64 v[44:45], v[74:75], v[150:151]
	v_add_f64 v[46:47], v[46:47], v[132:133]
	v_fma_f64 v[48:49], v[72:73], v[152:153], -v[44:45]
	v_mul_f64 v[44:45], v[70:71], v[156:157]
	v_add_f64 v[46:47], v[46:47], v[128:129]
	v_fma_f64 v[54:55], v[68:69], v[154:155], v[44:45]
	v_mul_f64 v[44:45], v[70:71], v[154:155]
	v_add_f64 v[46:47], v[46:47], v[76:77]
	v_fma_f64 v[50:51], v[68:69], v[156:157], -v[44:45]
	;; [unrolled: 6-line block ×3, first 2 shown]
	v_mul_f64 v[44:45], v[62:63], v[164:165]
	v_add_f64 v[46:47], v[46:47], v[64:65]
	v_fma_f64 v[66:67], v[60:61], v[162:163], v[44:45]
	v_mul_f64 v[44:45], v[62:63], v[162:163]
	v_fma_f64 v[60:61], v[60:61], v[164:165], -v[44:45]
	v_mul_f64 v[44:45], v[82:83], v[168:169]
	v_add_f64 v[46:47], v[46:47], v[60:61]
	v_fma_f64 v[62:63], v[80:81], v[166:167], v[44:45]
	v_mul_f64 v[44:45], v[82:83], v[166:167]
	v_fma_f64 v[70:71], v[80:81], v[168:169], -v[44:45]
	v_mul_f64 v[44:45], v[58:59], v[172:173]
	v_add_f64 v[46:47], v[46:47], v[70:71]
	v_fma_f64 v[72:73], v[56:57], v[170:171], v[44:45]
	v_mul_f64 v[44:45], v[58:59], v[170:171]
	v_add_f64 v[58:59], v[174:175], v[72:73]
	v_fma_f64 v[56:57], v[56:57], v[172:173], -v[44:45]
	v_add_f64 v[44:45], v[124:125], v[174:175]
	v_add_f64 v[46:47], v[46:47], v[56:57]
	;; [unrolled: 1-line block ×4, first 2 shown]
	v_add_f64 v[56:57], v[176:177], -v[56:57]
	v_add_f64 v[44:45], v[44:45], v[130:131]
	v_mul_f64 v[138:139], v[74:75], s[22:23]
	v_mul_f64 v[80:81], v[56:57], s[24:25]
	;; [unrolled: 1-line block ×10, first 2 shown]
	v_add_f64 v[44:45], v[44:45], v[78:79]
	v_fma_f64 v[82:83], v[58:59], s[22:23], v[80:81]
	v_fma_f64 v[80:81], v[58:59], s[22:23], -v[80:81]
	v_fma_f64 v[144:145], v[58:59], s[6:7], v[142:143]
	v_fma_f64 v[142:143], v[58:59], s[6:7], -v[142:143]
	;; [unrolled: 2-line block ×5, first 2 shown]
	v_add_f64 v[44:45], v[44:45], v[52:53]
	v_add_f64 v[82:83], v[124:125], v[82:83]
	;; [unrolled: 1-line block ×16, first 2 shown]
	v_add_f64 v[72:73], v[174:175], -v[72:73]
	v_fma_f64 v[168:169], v[72:73], s[34:35], v[74:75]
	v_fma_f64 v[58:59], v[72:73], s[28:29], v[74:75]
	v_add_f64 v[74:75], v[132:133], v[70:71]
	v_add_f64 v[70:71], v[132:133], -v[70:71]
	v_fma_f64 v[140:141], v[72:73], s[26:27], v[138:139]
	v_fma_f64 v[138:139], v[72:73], s[24:25], v[138:139]
	;; [unrolled: 1-line block ×8, first 2 shown]
	v_add_f64 v[72:73], v[134:135], v[62:63]
	v_add_f64 v[62:63], v[134:135], -v[62:63]
	v_add_f64 v[168:169], v[126:127], v[168:169]
	v_add_f64 v[58:59], v[126:127], v[58:59]
	v_mul_f64 v[124:125], v[70:71], s[8:9]
	v_add_f64 v[140:141], v[126:127], v[140:141]
	v_add_f64 v[138:139], v[126:127], v[138:139]
	v_add_f64 v[148:149], v[126:127], v[148:149]
	v_add_f64 v[146:147], v[126:127], v[146:147]
	v_add_f64 v[156:157], v[126:127], v[156:157]
	v_add_f64 v[154:155], v[126:127], v[154:155]
	v_add_f64 v[164:165], v[126:127], v[164:165]
	v_add_f64 v[162:163], v[126:127], v[162:163]
	v_fma_f64 v[126:127], v[72:73], s[6:7], v[124:125]
	v_fma_f64 v[124:125], v[72:73], s[6:7], -v[124:125]
	v_add_f64 v[82:83], v[126:127], v[82:83]
	v_mul_f64 v[126:127], v[74:75], s[6:7]
	v_add_f64 v[80:81], v[124:125], v[80:81]
	v_fma_f64 v[132:133], v[62:63], s[20:21], v[126:127]
	v_fma_f64 v[124:125], v[62:63], s[8:9], v[126:127]
	v_mul_f64 v[126:127], v[70:71], s[16:17]
	v_add_f64 v[132:133], v[132:133], v[140:141]
	v_add_f64 v[124:125], v[124:125], v[138:139]
	v_fma_f64 v[134:135], v[72:73], s[18:19], v[126:127]
	v_fma_f64 v[126:127], v[72:73], s[18:19], -v[126:127]
	v_mul_f64 v[138:139], v[74:75], s[18:19]
	v_add_f64 v[134:135], v[134:135], v[144:145]
	v_add_f64 v[126:127], v[126:127], v[142:143]
	v_mul_f64 v[142:143], v[70:71], s[34:35]
	v_fma_f64 v[140:141], v[62:63], s[10:11], v[138:139]
	v_fma_f64 v[138:139], v[62:63], s[16:17], v[138:139]
	;; [unrolled: 1-line block ×3, first 2 shown]
	v_fma_f64 v[142:143], v[72:73], s[30:31], -v[142:143]
	v_add_f64 v[138:139], v[138:139], v[146:147]
	v_mul_f64 v[146:147], v[74:75], s[30:31]
	v_add_f64 v[140:141], v[140:141], v[148:149]
	v_add_f64 v[144:145], v[144:145], v[152:153]
	v_add_f64 v[142:143], v[142:143], v[150:151]
	v_mul_f64 v[150:151], v[70:71], s[14:15]
	v_fma_f64 v[148:149], v[62:63], s[28:29], v[146:147]
	v_fma_f64 v[146:147], v[62:63], s[34:35], v[146:147]
	v_mul_f64 v[70:71], v[70:71], s[26:27]
	v_fma_f64 v[152:153], v[72:73], s[4:5], v[150:151]
	v_fma_f64 v[150:151], v[72:73], s[4:5], -v[150:151]
	v_add_f64 v[146:147], v[146:147], v[154:155]
	v_mul_f64 v[154:155], v[74:75], s[4:5]
	v_mul_f64 v[74:75], v[74:75], s[22:23]
	v_add_f64 v[148:149], v[148:149], v[156:157]
	v_add_f64 v[152:153], v[152:153], v[160:161]
	;; [unrolled: 1-line block ×3, first 2 shown]
	v_fma_f64 v[158:159], v[72:73], s[22:23], v[70:71]
	v_fma_f64 v[70:71], v[72:73], s[22:23], -v[70:71]
	v_fma_f64 v[156:157], v[62:63], s[2:3], v[154:155]
	v_fma_f64 v[154:155], v[62:63], s[14:15], v[154:155]
	;; [unrolled: 1-line block ×4, first 2 shown]
	v_add_f64 v[158:159], v[158:159], v[166:167]
	v_add_f64 v[56:57], v[70:71], v[56:57]
	;; [unrolled: 1-line block ×3, first 2 shown]
	v_add_f64 v[60:61], v[128:129], -v[60:61]
	v_add_f64 v[154:155], v[154:155], v[162:163]
	v_add_f64 v[58:59], v[62:63], v[58:59]
	;; [unrolled: 1-line block ×3, first 2 shown]
	v_add_f64 v[66:67], v[130:131], -v[66:67]
	v_add_f64 v[156:157], v[156:157], v[164:165]
	v_add_f64 v[160:161], v[160:161], v[168:169]
	v_mul_f64 v[130:131], v[70:71], s[30:31]
	v_mul_f64 v[72:73], v[60:61], s[2:3]
	v_fma_f64 v[74:75], v[62:63], s[4:5], v[72:73]
	v_fma_f64 v[72:73], v[62:63], s[4:5], -v[72:73]
	v_add_f64 v[74:75], v[74:75], v[82:83]
	v_mul_f64 v[82:83], v[70:71], s[4:5]
	v_add_f64 v[72:73], v[72:73], v[80:81]
	v_fma_f64 v[128:129], v[66:67], s[14:15], v[82:83]
	v_fma_f64 v[80:81], v[66:67], s[2:3], v[82:83]
	v_mul_f64 v[82:83], v[60:61], s[34:35]
	v_add_f64 v[128:129], v[128:129], v[132:133]
	v_add_f64 v[80:81], v[80:81], v[124:125]
	v_fma_f64 v[124:125], v[62:63], s[30:31], v[82:83]
	v_fma_f64 v[82:83], v[62:63], s[30:31], -v[82:83]
	v_fma_f64 v[132:133], v[66:67], s[28:29], v[130:131]
	v_add_f64 v[124:125], v[124:125], v[134:135]
	v_add_f64 v[82:83], v[82:83], v[126:127]
	v_fma_f64 v[126:127], v[66:67], s[34:35], v[130:131]
	v_mul_f64 v[130:131], v[60:61], s[20:21]
	v_add_f64 v[132:133], v[132:133], v[140:141]
	v_add_f64 v[126:127], v[126:127], v[138:139]
	v_fma_f64 v[134:135], v[62:63], s[6:7], v[130:131]
	v_fma_f64 v[130:131], v[62:63], s[6:7], -v[130:131]
	v_mul_f64 v[138:139], v[70:71], s[6:7]
	v_add_f64 v[134:135], v[134:135], v[144:145]
	v_add_f64 v[130:131], v[130:131], v[142:143]
	v_mul_f64 v[142:143], v[60:61], s[24:25]
	v_fma_f64 v[140:141], v[66:67], s[8:9], v[138:139]
	v_fma_f64 v[138:139], v[66:67], s[20:21], v[138:139]
	v_mul_f64 v[60:61], v[60:61], s[16:17]
	v_fma_f64 v[144:145], v[62:63], s[22:23], v[142:143]
	v_fma_f64 v[142:143], v[62:63], s[22:23], -v[142:143]
	v_add_f64 v[138:139], v[138:139], v[146:147]
	v_mul_f64 v[146:147], v[70:71], s[22:23]
	v_mul_f64 v[70:71], v[70:71], s[18:19]
	v_add_f64 v[140:141], v[140:141], v[148:149]
	v_add_f64 v[144:145], v[144:145], v[152:153]
	;; [unrolled: 1-line block ×3, first 2 shown]
	v_fma_f64 v[150:151], v[62:63], s[18:19], v[60:61]
	v_fma_f64 v[60:61], v[62:63], s[18:19], -v[60:61]
	v_add_f64 v[62:63], v[76:77], v[64:65]
	v_add_f64 v[64:65], v[76:77], -v[64:65]
	v_fma_f64 v[148:149], v[66:67], s[26:27], v[146:147]
	v_fma_f64 v[146:147], v[66:67], s[24:25], v[146:147]
	;; [unrolled: 1-line block ×3, first 2 shown]
	v_add_f64 v[150:151], v[150:151], v[158:159]
	v_add_f64 v[56:57], v[60:61], v[56:57]
	v_fma_f64 v[60:61], v[66:67], s[16:17], v[70:71]
	v_add_f64 v[66:67], v[78:79], -v[68:69]
	v_add_f64 v[148:149], v[148:149], v[156:157]
	v_add_f64 v[146:147], v[146:147], v[154:155]
	;; [unrolled: 1-line block ×5, first 2 shown]
	v_mul_f64 v[68:69], v[64:65], s[16:17]
	v_fma_f64 v[70:71], v[60:61], s[18:19], v[68:69]
	v_fma_f64 v[68:69], v[60:61], s[18:19], -v[68:69]
	v_add_f64 v[78:79], v[70:71], v[74:75]
	v_mul_f64 v[70:71], v[62:63], s[18:19]
	v_add_f64 v[154:155], v[68:69], v[72:73]
	v_fma_f64 v[68:69], v[66:67], s[16:17], v[70:71]
	v_fma_f64 v[74:75], v[66:67], s[10:11], v[70:71]
	v_add_f64 v[80:81], v[68:69], v[80:81]
	v_mul_f64 v[68:69], v[64:65], s[14:15]
	v_add_f64 v[128:129], v[74:75], v[128:129]
	v_fma_f64 v[70:71], v[60:61], s[4:5], v[68:69]
	v_fma_f64 v[68:69], v[60:61], s[4:5], -v[68:69]
	v_add_f64 v[124:125], v[70:71], v[124:125]
	v_mul_f64 v[70:71], v[62:63], s[4:5]
	v_add_f64 v[82:83], v[68:69], v[82:83]
	v_fma_f64 v[68:69], v[66:67], s[14:15], v[70:71]
	v_fma_f64 v[72:73], v[66:67], s[2:3], v[70:71]
	v_add_f64 v[126:127], v[68:69], v[126:127]
	v_mul_f64 v[68:69], v[64:65], s[24:25]
	v_add_f64 v[132:133], v[72:73], v[132:133]
	v_fma_f64 v[70:71], v[60:61], s[22:23], v[68:69]
	v_fma_f64 v[68:69], v[60:61], s[22:23], -v[68:69]
	v_add_f64 v[134:135], v[70:71], v[134:135]
	v_mul_f64 v[70:71], v[62:63], s[22:23]
	v_add_f64 v[130:131], v[68:69], v[130:131]
	v_fma_f64 v[68:69], v[66:67], s[24:25], v[70:71]
	v_fma_f64 v[72:73], v[66:67], s[26:27], v[70:71]
	v_add_f64 v[138:139], v[68:69], v[138:139]
	v_mul_f64 v[68:69], v[64:65], s[28:29]
	v_mul_f64 v[64:65], v[64:65], s[20:21]
	v_add_f64 v[140:141], v[72:73], v[140:141]
	v_fma_f64 v[70:71], v[60:61], s[30:31], v[68:69]
	v_fma_f64 v[68:69], v[60:61], s[30:31], -v[68:69]
	v_add_f64 v[144:145], v[70:71], v[144:145]
	v_mul_f64 v[70:71], v[62:63], s[30:31]
	v_add_f64 v[76:77], v[68:69], v[142:143]
	v_mul_f64 v[62:63], v[62:63], s[6:7]
	v_add_f64 v[142:143], v[48:49], -v[50:51]
	v_fma_f64 v[68:69], v[66:67], s[28:29], v[70:71]
	v_fma_f64 v[72:73], v[66:67], s[34:35], v[70:71]
	v_add_f64 v[74:75], v[68:69], v[146:147]
	v_fma_f64 v[68:69], v[60:61], s[6:7], v[64:65]
	v_fma_f64 v[60:61], v[60:61], s[6:7], -v[64:65]
	v_add_f64 v[148:149], v[72:73], v[148:149]
	v_add_f64 v[72:73], v[48:49], v[50:51]
	;; [unrolled: 1-line block ×4, first 2 shown]
	v_fma_f64 v[56:57], v[66:67], s[20:21], v[62:63]
	v_fma_f64 v[68:69], v[66:67], s[8:9], v[62:63]
	v_add_f64 v[66:67], v[52:53], v[54:55]
	v_add_f64 v[62:63], v[52:53], -v[54:55]
	v_mul_f64 v[52:53], v[142:143], s[28:29]
	v_mul_f64 v[54:55], v[72:73], s[30:31]
	v_add_f64 v[60:61], v[56:57], v[58:59]
	v_mul_f64 v[56:57], v[142:143], s[26:27]
	v_add_f64 v[68:69], v[68:69], v[152:153]
	v_fma_f64 v[48:49], v[66:67], s[30:31], v[52:53]
	v_fma_f64 v[50:51], v[62:63], s[34:35], v[54:55]
	v_fma_f64 v[54:55], v[62:63], s[28:29], v[54:55]
	v_fma_f64 v[52:53], v[66:67], s[30:31], -v[52:53]
	v_fma_f64 v[58:59], v[66:67], s[22:23], v[56:57]
	v_fma_f64 v[56:57], v[66:67], s[22:23], -v[56:57]
	v_add_f64 v[48:49], v[48:49], v[78:79]
	v_add_f64 v[50:51], v[50:51], v[128:129]
	;; [unrolled: 1-line block ×5, first 2 shown]
	v_mul_f64 v[58:59], v[72:73], s[22:23]
	v_add_f64 v[56:57], v[56:57], v[82:83]
	v_mul_f64 v[82:83], v[142:143], s[16:17]
	v_fma_f64 v[80:81], v[62:63], s[24:25], v[58:59]
	v_fma_f64 v[58:59], v[62:63], s[26:27], v[58:59]
	;; [unrolled: 1-line block ×3, first 2 shown]
	v_fma_f64 v[82:83], v[66:67], s[18:19], -v[82:83]
	v_add_f64 v[80:81], v[80:81], v[132:133]
	v_mul_f64 v[132:133], v[72:73], s[18:19]
	v_add_f64 v[58:59], v[58:59], v[126:127]
	v_add_f64 v[128:129], v[82:83], v[130:131]
	;; [unrolled: 1-line block ×3, first 2 shown]
	v_fma_f64 v[82:83], v[62:63], s[16:17], v[132:133]
	v_fma_f64 v[126:127], v[62:63], s[10:11], v[132:133]
	v_add_f64 v[130:131], v[82:83], v[138:139]
	v_mul_f64 v[82:83], v[142:143], s[20:21]
	v_add_f64 v[126:127], v[126:127], v[140:141]
	v_mul_f64 v[140:141], v[72:73], s[6:7]
	v_fma_f64 v[132:133], v[66:67], s[6:7], v[82:83]
	v_fma_f64 v[82:83], v[66:67], s[6:7], -v[82:83]
	v_fma_f64 v[134:135], v[62:63], s[8:9], v[140:141]
	v_add_f64 v[132:133], v[132:133], v[144:145]
	v_add_f64 v[138:139], v[82:83], v[76:77]
	v_fma_f64 v[76:77], v[62:63], s[20:21], v[140:141]
	v_add_f64 v[134:135], v[134:135], v[148:149]
	v_add_f64 v[140:141], v[76:77], v[74:75]
	v_mul_f64 v[74:75], v[142:143], s[2:3]
	v_fma_f64 v[76:77], v[66:67], s[4:5], v[74:75]
	v_fma_f64 v[66:67], v[66:67], s[4:5], -v[74:75]
	v_add_f64 v[70:71], v[76:77], v[70:71]
	v_mul_f64 v[76:77], v[72:73], s[4:5]
	v_add_f64 v[64:65], v[66:67], v[64:65]
	v_fma_f64 v[72:73], v[62:63], s[14:15], v[76:77]
	v_fma_f64 v[62:63], v[62:63], s[2:3], v[76:77]
	v_add_f64 v[72:73], v[72:73], v[68:69]
	v_add_f64 v[66:67], v[62:63], v[60:61]
	ds_write_b128 v189, v[44:47]
	ds_write_b128 v189, v[48:51] offset:176
	ds_write_b128 v189, v[78:81] offset:352
	;; [unrolled: 1-line block ×10, first 2 shown]
	s_waitcnt lgkmcnt(0)
	s_barrier
	buffer_gl0_inv
	ds_read_b128 v[64:67], v186
	ds_read_b128 v[44:47], v186 offset:1936
	ds_read_b128 v[48:51], v186 offset:3872
	;; [unrolled: 1-line block ×10, first 2 shown]
	s_waitcnt lgkmcnt(9)
	v_mul_f64 v[60:61], v[106:107], v[46:47]
	v_fma_f64 v[132:133], v[104:105], v[44:45], v[60:61]
	v_mul_f64 v[44:45], v[106:107], v[44:45]
	v_fma_f64 v[104:105], v[104:105], v[46:47], -v[44:45]
	s_waitcnt lgkmcnt(8)
	v_mul_f64 v[44:45], v[94:95], v[50:51]
	v_add_f64 v[46:47], v[66:67], v[104:105]
	v_fma_f64 v[106:107], v[92:93], v[48:49], v[44:45]
	v_mul_f64 v[44:45], v[94:95], v[48:49]
	v_fma_f64 v[92:93], v[92:93], v[50:51], -v[44:45]
	s_waitcnt lgkmcnt(7)
	v_mul_f64 v[44:45], v[90:91], v[54:55]
	v_add_f64 v[46:47], v[46:47], v[92:93]
	;; [unrolled: 6-line block ×9, first 2 shown]
	v_fma_f64 v[76:77], v[116:117], v[128:129], v[44:45]
	v_mul_f64 v[44:45], v[118:119], v[128:129]
	v_add_f64 v[80:81], v[132:133], v[76:77]
	v_fma_f64 v[78:79], v[116:117], v[130:131], -v[44:45]
	v_add_f64 v[44:45], v[64:65], v[132:133]
	v_add_f64 v[46:47], v[46:47], v[78:79]
	;; [unrolled: 1-line block ×4, first 2 shown]
	v_add_f64 v[78:79], v[104:105], -v[78:79]
	v_add_f64 v[44:45], v[44:45], v[94:95]
	v_mul_f64 v[90:91], v[82:83], s[22:23]
	v_mul_f64 v[84:85], v[78:79], s[24:25]
	;; [unrolled: 1-line block ×10, first 2 shown]
	v_add_f64 v[44:45], v[44:45], v[60:61]
	v_fma_f64 v[86:87], v[80:81], s[22:23], v[84:85]
	v_fma_f64 v[84:85], v[80:81], s[22:23], -v[84:85]
	v_fma_f64 v[100:101], v[80:81], s[6:7], v[98:99]
	v_fma_f64 v[98:99], v[80:81], s[6:7], -v[98:99]
	;; [unrolled: 2-line block ×5, first 2 shown]
	v_add_f64 v[44:45], v[44:45], v[52:53]
	v_add_f64 v[86:87], v[64:65], v[86:87]
	;; [unrolled: 1-line block ×12, first 2 shown]
	v_add_f64 v[74:75], v[92:93], -v[74:75]
	v_add_f64 v[44:45], v[44:45], v[54:55]
	v_mul_f64 v[80:81], v[74:75], s[8:9]
	v_add_f64 v[44:45], v[44:45], v[62:63]
	v_add_f64 v[44:45], v[44:45], v[68:69]
	;; [unrolled: 1-line block ×4, first 2 shown]
	v_add_f64 v[76:77], v[132:133], -v[76:77]
	v_fma_f64 v[96:97], v[76:77], s[26:27], v[90:91]
	v_fma_f64 v[90:91], v[76:77], s[24:25], v[90:91]
	;; [unrolled: 1-line block ×10, first 2 shown]
	v_add_f64 v[96:97], v[66:67], v[96:97]
	v_add_f64 v[90:91], v[66:67], v[90:91]
	;; [unrolled: 1-line block ×11, first 2 shown]
	v_add_f64 v[72:73], v[106:107], -v[72:73]
	v_fma_f64 v[82:83], v[76:77], s[6:7], v[80:81]
	v_fma_f64 v[80:81], v[76:77], s[6:7], -v[80:81]
	v_add_f64 v[82:83], v[82:83], v[86:87]
	v_mul_f64 v[86:87], v[78:79], s[6:7]
	v_add_f64 v[80:81], v[80:81], v[84:85]
	v_fma_f64 v[92:93], v[72:73], s[20:21], v[86:87]
	v_fma_f64 v[84:85], v[72:73], s[8:9], v[86:87]
	v_mul_f64 v[86:87], v[74:75], s[16:17]
	v_add_f64 v[92:93], v[92:93], v[96:97]
	v_add_f64 v[84:85], v[84:85], v[90:91]
	v_fma_f64 v[90:91], v[76:77], s[18:19], v[86:87]
	v_mul_f64 v[96:97], v[78:79], s[18:19]
	v_fma_f64 v[86:87], v[76:77], s[18:19], -v[86:87]
	v_add_f64 v[90:91], v[90:91], v[100:101]
	v_fma_f64 v[100:101], v[72:73], s[10:11], v[96:97]
	v_add_f64 v[86:87], v[86:87], v[98:99]
	v_fma_f64 v[96:97], v[72:73], s[16:17], v[96:97]
	v_mul_f64 v[98:99], v[74:75], s[34:35]
	v_add_f64 v[100:101], v[100:101], v[104:105]
	v_mul_f64 v[104:105], v[78:79], s[30:31]
	v_add_f64 v[96:97], v[96:97], v[102:103]
	v_fma_f64 v[102:103], v[76:77], s[30:31], v[98:99]
	v_fma_f64 v[98:99], v[76:77], s[30:31], -v[98:99]
	v_fma_f64 v[106:107], v[72:73], s[28:29], v[104:105]
	v_fma_f64 v[104:105], v[72:73], s[34:35], v[104:105]
	v_add_f64 v[102:103], v[102:103], v[110:111]
	v_add_f64 v[98:99], v[98:99], v[108:109]
	v_mul_f64 v[108:109], v[74:75], s[14:15]
	v_mul_f64 v[74:75], v[74:75], s[26:27]
	v_add_f64 v[106:107], v[106:107], v[114:115]
	v_add_f64 v[104:105], v[104:105], v[112:113]
	v_mul_f64 v[112:113], v[78:79], s[4:5]
	v_mul_f64 v[78:79], v[78:79], s[22:23]
	v_fma_f64 v[110:111], v[76:77], s[4:5], v[108:109]
	v_fma_f64 v[108:109], v[76:77], s[4:5], -v[108:109]
	v_fma_f64 v[114:115], v[72:73], s[2:3], v[112:113]
	v_fma_f64 v[112:113], v[72:73], s[14:15], v[112:113]
	v_add_f64 v[110:111], v[110:111], v[118:119]
	v_add_f64 v[108:109], v[108:109], v[116:117]
	v_fma_f64 v[116:117], v[76:77], s[22:23], v[74:75]
	v_fma_f64 v[74:75], v[76:77], s[22:23], -v[74:75]
	v_fma_f64 v[118:119], v[72:73], s[24:25], v[78:79]
	v_fma_f64 v[72:73], v[72:73], s[26:27], v[78:79]
	v_add_f64 v[114:115], v[114:115], v[122:123]
	v_add_f64 v[112:113], v[112:113], v[120:121]
	;; [unrolled: 1-line block ×5, first 2 shown]
	v_add_f64 v[70:71], v[88:89], -v[70:71]
	v_add_f64 v[66:67], v[72:73], v[66:67]
	v_add_f64 v[72:73], v[94:95], v[68:69]
	v_add_f64 v[68:69], v[94:95], -v[68:69]
	v_add_f64 v[118:119], v[118:119], v[126:127]
	v_mul_f64 v[76:77], v[70:71], s[2:3]
	v_fma_f64 v[78:79], v[72:73], s[4:5], v[76:77]
	v_fma_f64 v[76:77], v[72:73], s[4:5], -v[76:77]
	v_add_f64 v[78:79], v[78:79], v[82:83]
	v_mul_f64 v[82:83], v[74:75], s[4:5]
	v_add_f64 v[76:77], v[76:77], v[80:81]
	v_fma_f64 v[88:89], v[68:69], s[14:15], v[82:83]
	v_fma_f64 v[80:81], v[68:69], s[2:3], v[82:83]
	v_mul_f64 v[82:83], v[70:71], s[34:35]
	v_add_f64 v[88:89], v[88:89], v[92:93]
	v_add_f64 v[80:81], v[80:81], v[84:85]
	v_fma_f64 v[84:85], v[72:73], s[30:31], v[82:83]
	v_fma_f64 v[82:83], v[72:73], s[30:31], -v[82:83]
	v_add_f64 v[84:85], v[84:85], v[90:91]
	v_mul_f64 v[90:91], v[74:75], s[30:31]
	v_add_f64 v[82:83], v[82:83], v[86:87]
	v_fma_f64 v[92:93], v[68:69], s[28:29], v[90:91]
	v_fma_f64 v[86:87], v[68:69], s[34:35], v[90:91]
	v_mul_f64 v[90:91], v[70:71], s[20:21]
	v_add_f64 v[92:93], v[92:93], v[100:101]
	v_add_f64 v[86:87], v[86:87], v[96:97]
	v_fma_f64 v[94:95], v[72:73], s[6:7], v[90:91]
	v_fma_f64 v[90:91], v[72:73], s[6:7], -v[90:91]
	v_mul_f64 v[96:97], v[74:75], s[6:7]
	v_add_f64 v[94:95], v[94:95], v[102:103]
	v_add_f64 v[90:91], v[90:91], v[98:99]
	v_mul_f64 v[98:99], v[70:71], s[24:25]
	v_fma_f64 v[100:101], v[68:69], s[8:9], v[96:97]
	v_fma_f64 v[96:97], v[68:69], s[20:21], v[96:97]
	v_mul_f64 v[70:71], v[70:71], s[16:17]
	v_fma_f64 v[102:103], v[72:73], s[22:23], v[98:99]
	v_fma_f64 v[98:99], v[72:73], s[22:23], -v[98:99]
	v_add_f64 v[96:97], v[96:97], v[104:105]
	v_mul_f64 v[104:105], v[74:75], s[22:23]
	v_mul_f64 v[74:75], v[74:75], s[18:19]
	v_add_f64 v[100:101], v[100:101], v[106:107]
	v_add_f64 v[102:103], v[102:103], v[110:111]
	;; [unrolled: 1-line block ×3, first 2 shown]
	v_fma_f64 v[108:109], v[72:73], s[18:19], v[70:71]
	v_fma_f64 v[70:71], v[72:73], s[18:19], -v[70:71]
	v_fma_f64 v[106:107], v[68:69], s[26:27], v[104:105]
	v_fma_f64 v[104:105], v[68:69], s[24:25], v[104:105]
	;; [unrolled: 1-line block ×4, first 2 shown]
	v_add_f64 v[108:109], v[108:109], v[116:117]
	v_add_f64 v[64:65], v[70:71], v[64:65]
	;; [unrolled: 1-line block ×3, first 2 shown]
	v_add_f64 v[56:57], v[56:57], -v[58:59]
	v_add_f64 v[106:107], v[106:107], v[114:115]
	v_add_f64 v[66:67], v[68:69], v[66:67]
	;; [unrolled: 1-line block ×3, first 2 shown]
	v_add_f64 v[60:61], v[60:61], -v[62:63]
	v_add_f64 v[114:115], v[48:49], -v[50:51]
	v_add_f64 v[104:105], v[104:105], v[112:113]
	v_add_f64 v[110:111], v[110:111], v[118:119]
	v_add_f64 v[112:113], v[52:53], -v[54:55]
	v_mul_f64 v[72:73], v[70:71], s[18:19]
	v_mul_f64 v[58:59], v[56:57], s[16:17]
	v_fma_f64 v[74:75], v[60:61], s[10:11], v[72:73]
	v_fma_f64 v[62:63], v[68:69], s[18:19], v[58:59]
	v_fma_f64 v[58:59], v[68:69], s[18:19], -v[58:59]
	v_fma_f64 v[72:73], v[60:61], s[16:17], v[72:73]
	v_add_f64 v[74:75], v[74:75], v[88:89]
	v_add_f64 v[62:63], v[62:63], v[78:79]
	;; [unrolled: 1-line block ×3, first 2 shown]
	v_mul_f64 v[76:77], v[56:57], s[14:15]
	v_add_f64 v[72:73], v[72:73], v[80:81]
	v_mul_f64 v[80:81], v[70:71], s[4:5]
	v_mul_f64 v[88:89], v[70:71], s[22:23]
	v_fma_f64 v[78:79], v[68:69], s[4:5], v[76:77]
	v_fma_f64 v[76:77], v[68:69], s[4:5], -v[76:77]
	v_add_f64 v[78:79], v[78:79], v[84:85]
	v_fma_f64 v[84:85], v[60:61], s[2:3], v[80:81]
	v_add_f64 v[76:77], v[76:77], v[82:83]
	v_fma_f64 v[80:81], v[60:61], s[14:15], v[80:81]
	v_mul_f64 v[82:83], v[56:57], s[24:25]
	v_add_f64 v[84:85], v[84:85], v[92:93]
	v_fma_f64 v[92:93], v[60:61], s[26:27], v[88:89]
	v_add_f64 v[80:81], v[80:81], v[86:87]
	v_fma_f64 v[86:87], v[68:69], s[22:23], v[82:83]
	v_fma_f64 v[82:83], v[68:69], s[22:23], -v[82:83]
	v_fma_f64 v[88:89], v[60:61], s[24:25], v[88:89]
	v_add_f64 v[92:93], v[92:93], v[100:101]
	v_add_f64 v[86:87], v[86:87], v[94:95]
	;; [unrolled: 1-line block ×3, first 2 shown]
	v_mul_f64 v[90:91], v[56:57], s[28:29]
	v_mul_f64 v[56:57], v[56:57], s[20:21]
	v_add_f64 v[88:89], v[88:89], v[96:97]
	v_mul_f64 v[96:97], v[70:71], s[30:31]
	v_mul_f64 v[70:71], v[70:71], s[6:7]
	v_fma_f64 v[94:95], v[68:69], s[30:31], v[90:91]
	v_fma_f64 v[90:91], v[68:69], s[30:31], -v[90:91]
	v_fma_f64 v[100:101], v[60:61], s[34:35], v[96:97]
	v_fma_f64 v[96:97], v[60:61], s[28:29], v[96:97]
	v_add_f64 v[94:95], v[94:95], v[102:103]
	v_add_f64 v[90:91], v[90:91], v[98:99]
	v_fma_f64 v[98:99], v[68:69], s[6:7], v[56:57]
	v_fma_f64 v[102:103], v[60:61], s[8:9], v[70:71]
	v_fma_f64 v[56:57], v[68:69], s[6:7], -v[56:57]
	v_add_f64 v[96:97], v[96:97], v[104:105]
	v_mul_f64 v[68:69], v[114:115], s[16:17]
	v_add_f64 v[100:101], v[100:101], v[106:107]
	v_add_f64 v[98:99], v[98:99], v[108:109]
	;; [unrolled: 1-line block ×3, first 2 shown]
	v_mul_f64 v[52:53], v[114:115], s[28:29]
	v_add_f64 v[102:103], v[102:103], v[110:111]
	v_add_f64 v[110:111], v[48:49], v[50:51]
	;; [unrolled: 1-line block ×3, first 2 shown]
	v_fma_f64 v[56:57], v[60:61], s[20:21], v[70:71]
	v_mul_f64 v[60:61], v[114:115], s[26:27]
	v_fma_f64 v[64:65], v[108:109], s[18:19], v[68:69]
	v_fma_f64 v[48:49], v[108:109], s[30:31], v[52:53]
	v_fma_f64 v[52:53], v[108:109], s[30:31], -v[52:53]
	v_mul_f64 v[54:55], v[110:111], s[30:31]
	v_mul_f64 v[70:71], v[110:111], s[18:19]
	v_add_f64 v[106:107], v[56:57], v[66:67]
	v_fma_f64 v[56:57], v[108:109], s[22:23], v[60:61]
	v_fma_f64 v[60:61], v[108:109], s[22:23], -v[60:61]
	v_fma_f64 v[68:69], v[108:109], s[18:19], -v[68:69]
	v_add_f64 v[64:65], v[64:65], v[86:87]
	v_add_f64 v[48:49], v[48:49], v[62:63]
	v_mul_f64 v[62:63], v[110:111], s[22:23]
	v_add_f64 v[52:53], v[52:53], v[58:59]
	v_fma_f64 v[50:51], v[112:113], s[34:35], v[54:55]
	v_fma_f64 v[54:55], v[112:113], s[28:29], v[54:55]
	v_add_f64 v[56:57], v[56:57], v[78:79]
	v_add_f64 v[60:61], v[60:61], v[76:77]
	v_mul_f64 v[76:77], v[114:115], s[20:21]
	v_mul_f64 v[78:79], v[110:111], s[6:7]
	;; [unrolled: 1-line block ×3, first 2 shown]
	v_fma_f64 v[66:67], v[112:113], s[10:11], v[70:71]
	v_add_f64 v[68:69], v[68:69], v[82:83]
	v_fma_f64 v[70:71], v[112:113], s[16:17], v[70:71]
	v_fma_f64 v[58:59], v[112:113], s[24:25], v[62:63]
	;; [unrolled: 1-line block ×3, first 2 shown]
	v_add_f64 v[50:51], v[50:51], v[74:75]
	v_add_f64 v[54:55], v[54:55], v[72:73]
	v_fma_f64 v[72:73], v[108:109], s[6:7], v[76:77]
	v_fma_f64 v[74:75], v[112:113], s[8:9], v[78:79]
	;; [unrolled: 1-line block ×4, first 2 shown]
	v_fma_f64 v[76:77], v[108:109], s[6:7], -v[76:77]
	v_fma_f64 v[78:79], v[112:113], s[20:21], v[78:79]
	v_add_f64 v[66:67], v[66:67], v[92:93]
	v_add_f64 v[70:71], v[70:71], v[88:89]
	;; [unrolled: 1-line block ×3, first 2 shown]
	v_mul_f64 v[84:85], v[114:115], s[2:3]
	v_add_f64 v[62:63], v[62:63], v[80:81]
	s_mov_b32 s2, 0x3fdb1246
	s_mov_b32 s3, 0x3f489e7c
	v_add_f64 v[72:73], v[72:73], v[94:95]
	v_add_f64 v[74:75], v[74:75], v[100:101]
	;; [unrolled: 1-line block ×6, first 2 shown]
	v_fma_f64 v[80:81], v[108:109], s[4:5], v[84:85]
	v_fma_f64 v[84:85], v[108:109], s[4:5], -v[84:85]
	s_mul_hi_u32 s4, s0, 0x790
	v_add_f64 v[80:81], v[80:81], v[98:99]
	v_add_f64 v[84:85], v[84:85], v[104:105]
	ds_write_b128 v186, v[44:47]
	ds_write_b128 v186, v[48:51] offset:1936
	ds_write_b128 v186, v[56:59] offset:3872
	;; [unrolled: 1-line block ×10, first 2 shown]
	s_waitcnt lgkmcnt(0)
	s_barrier
	buffer_gl0_inv
	ds_read_b128 v[44:47], v186
	s_waitcnt lgkmcnt(0)
	v_mul_f64 v[48:49], v[42:43], v[46:47]
	v_mul_f64 v[42:43], v[42:43], v[44:45]
	v_fma_f64 v[48:49], v[40:41], v[44:45], v[48:49]
	v_fma_f64 v[40:41], v[40:41], v[46:47], -v[42:43]
	v_mul_f64 v[48:49], v[48:49], s[2:3]
	v_mul_f64 v[50:51], v[40:41], s[2:3]
	v_mad_u64_u32 v[40:41], null, s0, v187, 0
	s_mulk_i32 s0, 0x790
	v_mad_u64_u32 v[41:42], null, s1, v187, v[41:42]
	v_lshlrev_b64 v[42:43], 4, v[136:137]
	s_mulk_i32 s1, 0x790
	s_add_i32 s1, s4, s1
	v_lshlrev_b64 v[40:41], 4, v[40:41]
	v_add_co_u32 v42, vcc_lo, s12, v42
	v_add_co_ci_u32_e32 v43, vcc_lo, s13, v43, vcc_lo
	v_add_co_u32 v40, vcc_lo, v42, v40
	v_add_co_ci_u32_e32 v41, vcc_lo, v43, v41, vcc_lo
	ds_read_b128 v[42:45], v186 offset:1936
	global_store_dwordx4 v[40:41], v[48:51], off
	s_waitcnt lgkmcnt(0)
	v_mul_f64 v[46:47], v[38:39], v[44:45]
	v_mul_f64 v[38:39], v[38:39], v[42:43]
	v_fma_f64 v[46:47], v[36:37], v[42:43], v[46:47]
	v_fma_f64 v[36:37], v[36:37], v[44:45], -v[38:39]
	v_add_co_u32 v44, vcc_lo, v40, s0
	v_add_co_ci_u32_e32 v45, vcc_lo, s1, v41, vcc_lo
	v_mul_f64 v[46:47], v[46:47], s[2:3]
	v_mul_f64 v[48:49], v[36:37], s[2:3]
	ds_read_b128 v[36:39], v186 offset:3872
	s_waitcnt lgkmcnt(0)
	v_mul_f64 v[40:41], v[26:27], v[38:39]
	v_mul_f64 v[26:27], v[26:27], v[36:37]
	global_store_dwordx4 v[44:45], v[46:49], off
	v_add_co_u32 v44, vcc_lo, v44, s0
	v_add_co_ci_u32_e32 v45, vcc_lo, s1, v45, vcc_lo
	v_fma_f64 v[40:41], v[24:25], v[36:37], v[40:41]
	v_fma_f64 v[24:25], v[24:25], v[38:39], -v[26:27]
	v_mul_f64 v[40:41], v[40:41], s[2:3]
	v_mul_f64 v[42:43], v[24:25], s[2:3]
	ds_read_b128 v[24:27], v186 offset:5808
	s_waitcnt lgkmcnt(0)
	v_mul_f64 v[36:37], v[34:35], v[26:27]
	global_store_dwordx4 v[44:45], v[40:43], off
	v_add_co_u32 v40, vcc_lo, v44, s0
	v_add_co_ci_u32_e32 v41, vcc_lo, s1, v45, vcc_lo
	v_fma_f64 v[36:37], v[32:33], v[24:25], v[36:37]
	v_mul_f64 v[24:25], v[34:35], v[24:25]
	v_mul_f64 v[36:37], v[36:37], s[2:3]
	v_fma_f64 v[24:25], v[32:33], v[26:27], -v[24:25]
	v_mul_f64 v[38:39], v[24:25], s[2:3]
	ds_read_b128 v[24:27], v186 offset:7744
	s_waitcnt lgkmcnt(0)
	v_mul_f64 v[32:33], v[10:11], v[26:27]
	v_mul_f64 v[10:11], v[10:11], v[24:25]
	global_store_dwordx4 v[40:41], v[36:39], off
	v_add_co_u32 v36, vcc_lo, v40, s0
	v_add_co_ci_u32_e32 v37, vcc_lo, s1, v41, vcc_lo
	v_fma_f64 v[32:33], v[8:9], v[24:25], v[32:33]
	v_fma_f64 v[8:9], v[8:9], v[26:27], -v[10:11]
	v_mul_f64 v[32:33], v[32:33], s[2:3]
	v_mul_f64 v[34:35], v[8:9], s[2:3]
	ds_read_b128 v[8:11], v186 offset:9680
	s_waitcnt lgkmcnt(0)
	v_mul_f64 v[24:25], v[30:31], v[10:11]
	global_store_dwordx4 v[36:37], v[32:35], off
	v_fma_f64 v[24:25], v[28:29], v[8:9], v[24:25]
	v_mul_f64 v[8:9], v[30:31], v[8:9]
	v_mul_f64 v[24:25], v[24:25], s[2:3]
	v_fma_f64 v[8:9], v[28:29], v[10:11], -v[8:9]
	v_add_co_u32 v28, vcc_lo, v36, s0
	v_add_co_ci_u32_e32 v29, vcc_lo, s1, v37, vcc_lo
	v_mul_f64 v[26:27], v[8:9], s[2:3]
	ds_read_b128 v[8:11], v186 offset:11616
	global_store_dwordx4 v[28:29], v[24:27], off
	s_waitcnt lgkmcnt(0)
	v_mul_f64 v[24:25], v[22:23], v[10:11]
	v_add_co_u32 v28, vcc_lo, v28, s0
	v_add_co_ci_u32_e32 v29, vcc_lo, s1, v29, vcc_lo
	v_fma_f64 v[24:25], v[20:21], v[8:9], v[24:25]
	v_mul_f64 v[8:9], v[22:23], v[8:9]
	v_mul_f64 v[24:25], v[24:25], s[2:3]
	v_fma_f64 v[8:9], v[20:21], v[10:11], -v[8:9]
	v_mul_f64 v[26:27], v[8:9], s[2:3]
	ds_read_b128 v[8:11], v186 offset:13552
	s_waitcnt lgkmcnt(0)
	v_mul_f64 v[20:21], v[14:15], v[10:11]
	global_store_dwordx4 v[28:29], v[24:27], off
	v_add_co_u32 v24, vcc_lo, v28, s0
	v_add_co_ci_u32_e32 v25, vcc_lo, s1, v29, vcc_lo
	v_fma_f64 v[20:21], v[12:13], v[8:9], v[20:21]
	v_mul_f64 v[8:9], v[14:15], v[8:9]
	v_mul_f64 v[20:21], v[20:21], s[2:3]
	v_fma_f64 v[8:9], v[12:13], v[10:11], -v[8:9]
	v_mul_f64 v[22:23], v[8:9], s[2:3]
	ds_read_b128 v[8:11], v186 offset:15488
	s_waitcnt lgkmcnt(0)
	v_mul_f64 v[12:13], v[18:19], v[10:11]
	global_store_dwordx4 v[24:25], v[20:23], off
	v_fma_f64 v[12:13], v[16:17], v[8:9], v[12:13]
	v_mul_f64 v[8:9], v[18:19], v[8:9]
	v_mul_f64 v[12:13], v[12:13], s[2:3]
	v_fma_f64 v[8:9], v[16:17], v[10:11], -v[8:9]
	v_add_co_u32 v16, vcc_lo, v24, s0
	v_add_co_ci_u32_e32 v17, vcc_lo, s1, v25, vcc_lo
	v_mul_f64 v[14:15], v[8:9], s[2:3]
	ds_read_b128 v[8:11], v186 offset:17424
	global_store_dwordx4 v[16:17], v[12:15], off
	s_waitcnt lgkmcnt(0)
	v_mul_f64 v[12:13], v[6:7], v[10:11]
	v_mul_f64 v[6:7], v[6:7], v[8:9]
	v_add_co_u32 v16, vcc_lo, v16, s0
	v_add_co_ci_u32_e32 v17, vcc_lo, s1, v17, vcc_lo
	v_fma_f64 v[12:13], v[4:5], v[8:9], v[12:13]
	v_fma_f64 v[4:5], v[4:5], v[10:11], -v[6:7]
	v_mul_f64 v[12:13], v[12:13], s[2:3]
	v_mul_f64 v[14:15], v[4:5], s[2:3]
	ds_read_b128 v[4:7], v186 offset:19360
	s_waitcnt lgkmcnt(0)
	v_mul_f64 v[8:9], v[2:3], v[6:7]
	v_mul_f64 v[2:3], v[2:3], v[4:5]
	global_store_dwordx4 v[16:17], v[12:15], off
	v_fma_f64 v[8:9], v[0:1], v[4:5], v[8:9]
	v_fma_f64 v[0:1], v[0:1], v[6:7], -v[2:3]
	v_mul_f64 v[8:9], v[8:9], s[2:3]
	v_mul_f64 v[10:11], v[0:1], s[2:3]
	v_add_co_u32 v0, vcc_lo, v16, s0
	v_add_co_ci_u32_e32 v1, vcc_lo, s1, v17, vcc_lo
	global_store_dwordx4 v[0:1], v[8:11], off
.LBB0_2:
	s_endpgm
	.section	.rodata,"a",@progbits
	.p2align	6, 0x0
	.amdhsa_kernel bluestein_single_back_len1331_dim1_dp_op_CI_CI
		.amdhsa_group_segment_fixed_size 42592
		.amdhsa_private_segment_fixed_size 0
		.amdhsa_kernarg_size 104
		.amdhsa_user_sgpr_count 6
		.amdhsa_user_sgpr_private_segment_buffer 1
		.amdhsa_user_sgpr_dispatch_ptr 0
		.amdhsa_user_sgpr_queue_ptr 0
		.amdhsa_user_sgpr_kernarg_segment_ptr 1
		.amdhsa_user_sgpr_dispatch_id 0
		.amdhsa_user_sgpr_flat_scratch_init 0
		.amdhsa_user_sgpr_private_segment_size 0
		.amdhsa_wavefront_size32 1
		.amdhsa_uses_dynamic_stack 0
		.amdhsa_system_sgpr_private_segment_wavefront_offset 0
		.amdhsa_system_sgpr_workgroup_id_x 1
		.amdhsa_system_sgpr_workgroup_id_y 0
		.amdhsa_system_sgpr_workgroup_id_z 0
		.amdhsa_system_sgpr_workgroup_info 0
		.amdhsa_system_vgpr_workitem_id 0
		.amdhsa_next_free_vgpr 216
		.amdhsa_next_free_sgpr 36
		.amdhsa_reserve_vcc 1
		.amdhsa_reserve_flat_scratch 0
		.amdhsa_float_round_mode_32 0
		.amdhsa_float_round_mode_16_64 0
		.amdhsa_float_denorm_mode_32 3
		.amdhsa_float_denorm_mode_16_64 3
		.amdhsa_dx10_clamp 1
		.amdhsa_ieee_mode 1
		.amdhsa_fp16_overflow 0
		.amdhsa_workgroup_processor_mode 1
		.amdhsa_memory_ordered 1
		.amdhsa_forward_progress 0
		.amdhsa_shared_vgpr_count 0
		.amdhsa_exception_fp_ieee_invalid_op 0
		.amdhsa_exception_fp_denorm_src 0
		.amdhsa_exception_fp_ieee_div_zero 0
		.amdhsa_exception_fp_ieee_overflow 0
		.amdhsa_exception_fp_ieee_underflow 0
		.amdhsa_exception_fp_ieee_inexact 0
		.amdhsa_exception_int_div_zero 0
	.end_amdhsa_kernel
	.text
.Lfunc_end0:
	.size	bluestein_single_back_len1331_dim1_dp_op_CI_CI, .Lfunc_end0-bluestein_single_back_len1331_dim1_dp_op_CI_CI
                                        ; -- End function
	.section	.AMDGPU.csdata,"",@progbits
; Kernel info:
; codeLenInByte = 20148
; NumSgprs: 38
; NumVgprs: 216
; ScratchSize: 0
; MemoryBound: 0
; FloatMode: 240
; IeeeMode: 1
; LDSByteSize: 42592 bytes/workgroup (compile time only)
; SGPRBlocks: 4
; VGPRBlocks: 26
; NumSGPRsForWavesPerEU: 38
; NumVGPRsForWavesPerEU: 216
; Occupancy: 4
; WaveLimiterHint : 1
; COMPUTE_PGM_RSRC2:SCRATCH_EN: 0
; COMPUTE_PGM_RSRC2:USER_SGPR: 6
; COMPUTE_PGM_RSRC2:TRAP_HANDLER: 0
; COMPUTE_PGM_RSRC2:TGID_X_EN: 1
; COMPUTE_PGM_RSRC2:TGID_Y_EN: 0
; COMPUTE_PGM_RSRC2:TGID_Z_EN: 0
; COMPUTE_PGM_RSRC2:TIDIG_COMP_CNT: 0
	.text
	.p2alignl 6, 3214868480
	.fill 48, 4, 3214868480
	.type	__hip_cuid_8cf0173d336dfa71,@object ; @__hip_cuid_8cf0173d336dfa71
	.section	.bss,"aw",@nobits
	.globl	__hip_cuid_8cf0173d336dfa71
__hip_cuid_8cf0173d336dfa71:
	.byte	0                               ; 0x0
	.size	__hip_cuid_8cf0173d336dfa71, 1

	.ident	"AMD clang version 19.0.0git (https://github.com/RadeonOpenCompute/llvm-project roc-6.4.0 25133 c7fe45cf4b819c5991fe208aaa96edf142730f1d)"
	.section	".note.GNU-stack","",@progbits
	.addrsig
	.addrsig_sym __hip_cuid_8cf0173d336dfa71
	.amdgpu_metadata
---
amdhsa.kernels:
  - .args:
      - .actual_access:  read_only
        .address_space:  global
        .offset:         0
        .size:           8
        .value_kind:     global_buffer
      - .actual_access:  read_only
        .address_space:  global
        .offset:         8
        .size:           8
        .value_kind:     global_buffer
      - .actual_access:  read_only
        .address_space:  global
        .offset:         16
        .size:           8
        .value_kind:     global_buffer
      - .actual_access:  read_only
        .address_space:  global
        .offset:         24
        .size:           8
        .value_kind:     global_buffer
      - .actual_access:  read_only
        .address_space:  global
        .offset:         32
        .size:           8
        .value_kind:     global_buffer
      - .offset:         40
        .size:           8
        .value_kind:     by_value
      - .address_space:  global
        .offset:         48
        .size:           8
        .value_kind:     global_buffer
      - .address_space:  global
        .offset:         56
        .size:           8
        .value_kind:     global_buffer
      - .address_space:  global
        .offset:         64
        .size:           8
        .value_kind:     global_buffer
      - .address_space:  global
        .offset:         72
        .size:           8
        .value_kind:     global_buffer
      - .offset:         80
        .size:           4
        .value_kind:     by_value
      - .address_space:  global
        .offset:         88
        .size:           8
        .value_kind:     global_buffer
      - .address_space:  global
        .offset:         96
        .size:           8
        .value_kind:     global_buffer
    .group_segment_fixed_size: 42592
    .kernarg_segment_align: 8
    .kernarg_segment_size: 104
    .language:       OpenCL C
    .language_version:
      - 2
      - 0
    .max_flat_workgroup_size: 242
    .name:           bluestein_single_back_len1331_dim1_dp_op_CI_CI
    .private_segment_fixed_size: 0
    .sgpr_count:     38
    .sgpr_spill_count: 0
    .symbol:         bluestein_single_back_len1331_dim1_dp_op_CI_CI.kd
    .uniform_work_group_size: 1
    .uses_dynamic_stack: false
    .vgpr_count:     216
    .vgpr_spill_count: 0
    .wavefront_size: 32
    .workgroup_processor_mode: 1
amdhsa.target:   amdgcn-amd-amdhsa--gfx1030
amdhsa.version:
  - 1
  - 2
...

	.end_amdgpu_metadata
